;; amdgpu-corpus repo=ROCm/rocFFT kind=compiled arch=gfx950 opt=O3
	.text
	.amdgcn_target "amdgcn-amd-amdhsa--gfx950"
	.amdhsa_code_object_version 6
	.protected	bluestein_single_fwd_len616_dim1_half_op_CI_CI ; -- Begin function bluestein_single_fwd_len616_dim1_half_op_CI_CI
	.globl	bluestein_single_fwd_len616_dim1_half_op_CI_CI
	.p2align	8
	.type	bluestein_single_fwd_len616_dim1_half_op_CI_CI,@function
bluestein_single_fwd_len616_dim1_half_op_CI_CI: ; @bluestein_single_fwd_len616_dim1_half_op_CI_CI
; %bb.0:
	s_load_dwordx4 s[8:11], s[0:1], 0x28
	v_mul_u32_u24_e32 v1, 0x2e9, v0
	v_add_u32_sdwa v12, s2, v1 dst_sel:DWORD dst_unused:UNUSED_PAD src0_sel:DWORD src1_sel:WORD_1
	v_mov_b32_e32 v13, 0
	s_waitcnt lgkmcnt(0)
	v_cmp_gt_u64_e32 vcc, s[8:9], v[12:13]
	s_and_saveexec_b64 s[2:3], vcc
	s_cbranch_execz .LBB0_23
; %bb.1:
	s_load_dwordx2 s[12:13], s[0:1], 0x0
	s_load_dwordx2 s[2:3], s[0:1], 0x38
	s_movk_i32 s4, 0x58
	v_mul_lo_u16_sdwa v1, v1, s4 dst_sel:DWORD dst_unused:UNUSED_PAD src0_sel:WORD_1 src1_sel:DWORD
	v_sub_u16_e32 v13, v0, v1
	v_cmp_gt_u16_e32 vcc, 56, v13
	v_lshlrev_b32_e32 v11, 2, v13
	s_and_saveexec_b64 s[8:9], vcc
	s_cbranch_execz .LBB0_3
; %bb.2:
	s_load_dwordx2 s[4:5], s[0:1], 0x18
	v_mov_b32_e32 v0, s10
	v_mov_b32_e32 v1, s11
	s_waitcnt lgkmcnt(0)
	global_load_dword v10, v11, s[12:13]
	v_mov_b32_e32 v27, 0x1c0
	s_load_dwordx4 s[4:7], s[4:5], 0x0
	s_waitcnt lgkmcnt(0)
	v_mad_u64_u32 v[2:3], s[10:11], s6, v12, 0
	v_mad_u64_u32 v[4:5], s[10:11], s4, v13, 0
	v_mov_b32_e32 v6, v3
	v_mov_b32_e32 v8, v5
	v_mad_u64_u32 v[6:7], s[6:7], s7, v12, v[6:7]
	v_mov_b32_e32 v3, v6
	v_mad_u64_u32 v[6:7], s[6:7], s5, v13, v[8:9]
	v_mov_b32_e32 v5, v6
	v_lshl_add_u64 v[0:1], v[2:3], 2, v[0:1]
	v_lshl_add_u64 v[2:3], v[4:5], 2, v[0:1]
	global_load_dword v8, v[2:3], off
	v_mov_b32_e32 v9, 0xe0
	v_mad_u64_u32 v[2:3], s[6:7], s4, v9, v[2:3]
	s_mul_i32 s10, s5, 0xe0
	v_add_u32_e32 v3, s10, v3
	global_load_dword v14, v[2:3], off
	global_load_dword v15, v11, s[12:13] offset:224
	v_mad_u64_u32 v[2:3], s[6:7], s4, v9, v[2:3]
	v_add_u32_e32 v3, s10, v3
	global_load_dword v16, v[2:3], off
	global_load_dword v17, v11, s[12:13] offset:448
	v_mad_u64_u32 v[2:3], s[6:7], s4, v9, v[2:3]
	v_add_u32_e32 v3, s10, v3
	global_load_dword v18, v[2:3], off
	global_load_dword v19, v11, s[12:13] offset:672
	v_mad_u64_u32 v[2:3], s[6:7], s4, v9, v[2:3]
	v_add_u32_e32 v3, s10, v3
	global_load_dword v20, v[2:3], off
	global_load_dword v21, v11, s[12:13] offset:896
	v_mad_u64_u32 v[2:3], s[6:7], s4, v9, v[2:3]
	v_add_u32_e32 v3, s10, v3
	global_load_dword v22, v[2:3], off
	global_load_dword v23, v11, s[12:13] offset:1120
	global_load_dword v24, v11, s[12:13] offset:1344
	;; [unrolled: 1-line block ×3, first 2 shown]
	v_mad_u64_u32 v[2:3], s[6:7], s4, v9, v[2:3]
	v_add_u32_e32 v3, s10, v3
	global_load_dword v26, v[2:3], off
	v_mad_u64_u32 v[2:3], s[6:7], s4, v9, v[2:3]
	v_or_b32_e32 v7, 0x1c0, v13
	v_add_u32_e32 v3, s10, v3
	global_load_dword v28, v[2:3], off
	v_mad_u64_u32 v[4:5], s[6:7], s4, v7, 0
	v_mov_b32_e32 v6, v5
	v_mad_u64_u32 v[6:7], s[6:7], s5, v7, v[6:7]
	v_mov_b32_e32 v5, v6
	v_lshl_add_u64 v[0:1], v[4:5], 2, v[0:1]
	global_load_dword v4, v[0:1], off
	global_load_dword v5, v11, s[12:13] offset:1792
	s_mulk_i32 s5, 0x1c0
	v_mad_u64_u32 v[0:1], s[6:7], s4, v27, v[2:3]
	v_add_u32_e32 v1, s5, v1
	global_load_dword v2, v[0:1], off
	global_load_dword v3, v11, s[12:13] offset:2016
	v_mad_u64_u32 v[0:1], s[4:5], s4, v9, v[0:1]
	v_add_u32_e32 v1, s10, v1
	global_load_dword v6, v[0:1], off
	global_load_dword v7, v11, s[12:13] offset:2240
	s_waitcnt vmcnt(20)
	v_lshrrev_b32_e32 v0, 16, v8
	v_mul_f16_sdwa v1, v10, v8 dst_sel:DWORD dst_unused:UNUSED_PAD src0_sel:WORD_1 src1_sel:DWORD
	v_mul_f16_sdwa v9, v10, v0 dst_sel:DWORD dst_unused:UNUSED_PAD src0_sel:WORD_1 src1_sel:DWORD
	v_fma_f16 v0, v10, v0, -v1
	v_fma_f16 v1, v10, v8, v9
	s_waitcnt vmcnt(19)
	v_lshrrev_b32_e32 v8, 16, v14
	s_waitcnt vmcnt(18)
	v_mul_f16_sdwa v9, v15, v14 dst_sel:DWORD dst_unused:UNUSED_PAD src0_sel:WORD_1 src1_sel:DWORD
	v_pack_b32_f16 v0, v1, v0
	v_mul_f16_sdwa v1, v15, v8 dst_sel:DWORD dst_unused:UNUSED_PAD src0_sel:WORD_1 src1_sel:DWORD
	v_fma_f16 v8, v15, v8, -v9
	v_fma_f16 v1, v15, v14, v1
	s_waitcnt vmcnt(17)
	v_lshrrev_b32_e32 v9, 16, v16
	s_waitcnt vmcnt(16)
	v_mul_f16_sdwa v10, v17, v16 dst_sel:DWORD dst_unused:UNUSED_PAD src0_sel:WORD_1 src1_sel:DWORD
	v_pack_b32_f16 v1, v1, v8
	v_mul_f16_sdwa v8, v17, v9 dst_sel:DWORD dst_unused:UNUSED_PAD src0_sel:WORD_1 src1_sel:DWORD
	v_fma_f16 v9, v17, v9, -v10
	ds_write2_b32 v11, v0, v1 offset1:56
	v_fma_f16 v0, v17, v16, v8
	s_waitcnt vmcnt(15)
	v_lshrrev_b32_e32 v1, 16, v18
	s_waitcnt vmcnt(14)
	v_mul_f16_sdwa v8, v19, v18 dst_sel:DWORD dst_unused:UNUSED_PAD src0_sel:WORD_1 src1_sel:DWORD
	v_pack_b32_f16 v0, v0, v9
	v_mul_f16_sdwa v9, v19, v1 dst_sel:DWORD dst_unused:UNUSED_PAD src0_sel:WORD_1 src1_sel:DWORD
	v_fma_f16 v1, v19, v1, -v8
	v_fma_f16 v8, v19, v18, v9
	s_waitcnt vmcnt(13)
	v_lshrrev_b32_e32 v9, 16, v20
	v_pack_b32_f16 v1, v8, v1
	s_waitcnt vmcnt(12)
	v_mul_f16_sdwa v8, v21, v9 dst_sel:DWORD dst_unused:UNUSED_PAD src0_sel:WORD_1 src1_sel:DWORD
	ds_write2_b32 v11, v0, v1 offset0:112 offset1:168
	v_mul_f16_sdwa v1, v21, v20 dst_sel:DWORD dst_unused:UNUSED_PAD src0_sel:WORD_1 src1_sel:DWORD
	v_fma_f16 v0, v21, v20, v8
	v_fma_f16 v1, v21, v9, -v1
	v_pack_b32_f16 v0, v0, v1
	s_waitcnt vmcnt(11)
	v_lshrrev_b32_e32 v1, 16, v22
	s_waitcnt vmcnt(10)
	v_mul_f16_sdwa v8, v23, v1 dst_sel:DWORD dst_unused:UNUSED_PAD src0_sel:WORD_1 src1_sel:DWORD
	v_mul_f16_sdwa v9, v23, v22 dst_sel:DWORD dst_unused:UNUSED_PAD src0_sel:WORD_1 src1_sel:DWORD
	v_fma_f16 v8, v23, v22, v8
	v_fma_f16 v1, v23, v1, -v9
	v_pack_b32_f16 v1, v8, v1
	v_add_u32_e32 v8, 0x200, v11
	ds_write2_b32 v8, v0, v1 offset0:96 offset1:152
	s_waitcnt vmcnt(7)
	v_lshrrev_b32_e32 v0, 16, v26
	v_mul_f16_sdwa v1, v24, v0 dst_sel:DWORD dst_unused:UNUSED_PAD src0_sel:WORD_1 src1_sel:DWORD
	v_mul_f16_sdwa v8, v24, v26 dst_sel:DWORD dst_unused:UNUSED_PAD src0_sel:WORD_1 src1_sel:DWORD
	v_fma_f16 v1, v24, v26, v1
	v_fma_f16 v0, v24, v0, -v8
	v_pack_b32_f16 v0, v1, v0
	s_waitcnt vmcnt(6)
	v_lshrrev_b32_e32 v1, 16, v28
	v_mul_f16_sdwa v8, v25, v1 dst_sel:DWORD dst_unused:UNUSED_PAD src0_sel:WORD_1 src1_sel:DWORD
	v_mul_f16_sdwa v9, v25, v28 dst_sel:DWORD dst_unused:UNUSED_PAD src0_sel:WORD_1 src1_sel:DWORD
	v_fma_f16 v8, v25, v28, v8
	v_fma_f16 v1, v25, v1, -v9
	v_pack_b32_f16 v1, v8, v1
	v_add_u32_e32 v8, 0x400, v11
	ds_write2_b32 v8, v0, v1 offset0:80 offset1:136
	s_waitcnt vmcnt(5)
	v_lshrrev_b32_e32 v0, 16, v4
	s_waitcnt vmcnt(4)
	v_mul_f16_sdwa v1, v5, v0 dst_sel:DWORD dst_unused:UNUSED_PAD src0_sel:WORD_1 src1_sel:DWORD
	v_fma_f16 v1, v5, v4, v1
	v_mul_f16_sdwa v4, v5, v4 dst_sel:DWORD dst_unused:UNUSED_PAD src0_sel:WORD_1 src1_sel:DWORD
	v_fma_f16 v0, v5, v0, -v4
	v_pack_b32_f16 v0, v1, v0
	s_waitcnt vmcnt(3)
	v_lshrrev_b32_e32 v1, 16, v2
	s_waitcnt vmcnt(2)
	v_mul_f16_sdwa v4, v3, v1 dst_sel:DWORD dst_unused:UNUSED_PAD src0_sel:WORD_1 src1_sel:DWORD
	v_fma_f16 v4, v3, v2, v4
	v_mul_f16_sdwa v2, v3, v2 dst_sel:DWORD dst_unused:UNUSED_PAD src0_sel:WORD_1 src1_sel:DWORD
	v_fma_f16 v1, v3, v1, -v2
	v_pack_b32_f16 v1, v4, v1
	ds_write2_b32 v8, v0, v1 offset0:192 offset1:248
	s_waitcnt vmcnt(1)
	v_lshrrev_b32_e32 v0, 16, v6
	s_waitcnt vmcnt(0)
	v_mul_f16_sdwa v1, v7, v0 dst_sel:DWORD dst_unused:UNUSED_PAD src0_sel:WORD_1 src1_sel:DWORD
	v_mul_f16_sdwa v2, v7, v6 dst_sel:DWORD dst_unused:UNUSED_PAD src0_sel:WORD_1 src1_sel:DWORD
	v_fma_f16 v1, v7, v6, v1
	v_fma_f16 v0, v7, v0, -v2
	v_pack_b32_f16 v0, v1, v0
	ds_write_b32 v11, v0 offset:2240
.LBB0_3:
	s_or_b64 exec, exec, s[8:9]
	s_load_dwordx2 s[6:7], s[0:1], 0x20
	s_load_dwordx2 s[4:5], s[0:1], 0x8
	v_mov_b32_e32 v0, 0
	s_waitcnt lgkmcnt(0)
	s_barrier
	s_waitcnt lgkmcnt(0)
                                        ; implicit-def: $vgpr8
                                        ; implicit-def: $vgpr20
                                        ; implicit-def: $vgpr21
                                        ; implicit-def: $vgpr25
                                        ; implicit-def: $vgpr23
                                        ; implicit-def: $vgpr7
                                        ; implicit-def: $vgpr24
                                        ; implicit-def: $vgpr32
                                        ; implicit-def: $vgpr5
                                        ; implicit-def: $vgpr22
                                        ; implicit-def: $vgpr18
                                        ; implicit-def: $vgpr3
                                        ; implicit-def: $vgpr10
                                        ; implicit-def: $vgpr16
                                        ; implicit-def: $vgpr17
	s_and_saveexec_b64 s[0:1], vcc
	s_cbranch_execz .LBB0_5
; %bb.4:
	v_add_u32_e32 v4, 0x200, v11
	v_add_u32_e32 v8, 0x400, v11
	ds_read2_b32 v[0:1], v11 offset1:56
	ds_read2_b32 v[2:3], v11 offset0:112 offset1:168
	ds_read2_b32 v[4:5], v4 offset0:96 offset1:152
	ds_read2_b32 v[6:7], v8 offset0:80 offset1:136
	ds_read2_b32 v[8:9], v8 offset0:192 offset1:248
	ds_read_b32 v25, v11 offset:2240
	s_waitcnt lgkmcnt(5)
	v_lshrrev_b32_e32 v17, 16, v1
	s_waitcnt lgkmcnt(4)
	v_lshrrev_b32_e32 v16, 16, v2
	v_lshrrev_b32_e32 v10, 16, v3
	s_waitcnt lgkmcnt(3)
	v_lshrrev_b32_e32 v18, 16, v4
	;; [unrolled: 3-line block ×5, first 2 shown]
.LBB0_5:
	s_or_b64 exec, exec, s[0:1]
	v_sub_f16_e32 v61, v17, v23
	v_add_f16_e32 v44, v25, v1
	v_sub_f16_e32 v56, v1, v25
	s_movk_i32 s8, 0x3abb
	v_mul_f16_e32 v33, 0xb853, v61
	v_sub_f16_e32 v68, v16, v21
	v_add_f16_e32 v45, v23, v17
	v_mul_f16_e32 v34, 0xb853, v56
	v_fma_f16 v14, v44, s8, v33
	s_movk_i32 s9, 0x36a6
	v_add_f16_e32 v46, v9, v2
	v_sub_f16_e32 v65, v2, v9
	v_mul_f16_e32 v36, 0xbb47, v68
	v_add_f16_e32 v14, v14, v0
	v_fma_f16 v15, v45, s8, -v34
	v_mul_f16_e32 v35, 0xbb47, v61
	v_add_f16_e32 v47, v21, v16
	v_mul_f16_e32 v38, 0xbb47, v65
	v_fma_f16 v29, v46, s9, v36
	v_add_f16_sdwa v15, v15, v0 dst_sel:DWORD dst_unused:UNUSED_PAD src0_sel:DWORD src1_sel:WORD_1
	v_fma_f16 v19, v44, s9, v35
	s_mov_b32 s10, 0xb08e
	v_mul_f16_e32 v40, 0xbbeb, v61
	s_mov_b32 s11, 0xb93d
	v_add_f16_e32 v29, v29, v14
	v_fma_f16 v14, v47, s9, -v38
	v_mul_f16_e32 v39, 0xba0c, v68
	v_sub_f16_e32 v75, v10, v20
	v_add_f16_e32 v19, v19, v0
	v_fma_f16 v27, v44, s10, v40
	v_add_f16_e32 v30, v14, v15
	v_fma_f16 v14, v46, s11, v39
	s_mov_b32 s14, 0xbbad
	v_mul_f16_e32 v42, 0x3482, v68
	v_add_f16_e32 v50, v8, v3
	v_mul_f16_e32 v41, 0x3482, v75
	v_add_f16_e32 v27, v27, v0
	v_add_f16_e32 v14, v14, v19
	v_fma_f16 v15, v46, s14, v42
	v_fma_f16 v19, v50, s14, v41
	v_mul_f16_e32 v48, 0x3b47, v75
	v_sub_f16_e32 v80, v18, v24
	v_add_f16_e32 v15, v15, v27
	v_add_f16_e32 v14, v19, v14
	v_fma_f16 v19, v50, s9, v48
	v_add_f16_e32 v51, v7, v4
	v_mul_f16_e32 v49, 0x3beb, v80
	v_add_f16_e32 v15, v19, v15
	v_fma_f16 v19, v51, s10, v49
	v_mul_f16_e32 v52, 0xb853, v80
	v_sub_f16_e32 v85, v22, v32
	v_add_f16_e32 v14, v19, v14
	v_fma_f16 v19, v51, s8, v52
	v_add_f16_e32 v55, v6, v5
	v_mul_f16_e32 v53, 0x3853, v85
	v_mul_f16_e32 v37, 0xbb47, v56
	v_add_f16_e32 v19, v19, v15
	v_fma_f16 v15, v55, s8, v53
	v_mul_f16_e32 v58, 0xba0c, v85
	v_fma_f16 v26, v45, s9, -v37
	v_mul_f16_e32 v43, 0xbbeb, v56
	v_add_f16_e32 v15, v15, v14
	v_fma_f16 v14, v55, s11, v58
	v_mul_f16_e32 v57, 0xba0c, v65
	v_add_f16_sdwa v26, v26, v0 dst_sel:DWORD dst_unused:UNUSED_PAD src0_sel:DWORD src1_sel:WORD_1
	v_fma_f16 v28, v45, s10, -v43
	v_add_f16_e32 v14, v14, v19
	v_fma_f16 v19, v47, s11, -v57
	v_mul_f16_e32 v69, 0x3482, v65
	v_mul_f16_e32 v78, 0xba0c, v61
	v_add_f16_sdwa v28, v28, v0 dst_sel:DWORD dst_unused:UNUSED_PAD src0_sel:DWORD src1_sel:WORD_1
	v_add_f16_e32 v19, v19, v26
	v_fma_f16 v26, v47, s14, -v69
	v_fma_f16 v27, v44, s11, v78
	v_mul_f16_e32 v77, 0x3beb, v68
	v_add_f16_e32 v26, v26, v28
	v_add_f16_e32 v27, v27, v0
	v_fma_f16 v28, v46, s10, v77
	v_mul_f16_e32 v83, 0xba0c, v56
	v_add_f16_e32 v27, v28, v27
	v_fma_f16 v28, v45, s11, -v83
	v_mul_f16_e32 v84, 0x3beb, v65
	v_add_f16_sdwa v28, v28, v0 dst_sel:DWORD dst_unused:UNUSED_PAD src0_sel:DWORD src1_sel:WORD_1
	v_fma_f16 v31, v47, s10, -v84
	v_mul_f16_e32 v54, 0xbbeb, v75
	v_sub_f16_e32 v89, v3, v8
	v_add_f16_e32 v28, v31, v28
	v_fma_f16 v31, v50, s10, v54
	v_add_f16_e32 v70, v20, v10
	v_mul_f16_e32 v59, 0xbbeb, v89
	v_add_f16_e32 v29, v31, v29
	v_fma_f16 v31, v70, s10, -v59
	v_mul_f16_e32 v64, 0x3482, v89
	v_add_f16_e32 v30, v31, v30
	v_fma_f16 v31, v70, s14, -v64
	;; [unrolled: 3-line block ×3, first 2 shown]
	v_mul_f16_e32 v81, 0xb853, v75
	v_add_f16_e32 v26, v31, v26
	v_fma_f16 v31, v50, s8, v81
	v_mul_f16_e32 v86, 0xb853, v89
	v_add_f16_e32 v27, v31, v27
	v_fma_f16 v31, v70, s8, -v86
	v_mul_f16_e32 v60, 0xba0c, v80
	v_sub_f16_e32 v91, v4, v7
	v_add_f16_e32 v28, v31, v28
	v_fma_f16 v31, v51, s11, v60
	v_add_f16_e32 v72, v24, v18
	v_mul_f16_e32 v62, 0xba0c, v91
	v_add_f16_e32 v29, v31, v29
	v_fma_f16 v31, v72, s11, -v62
	v_mul_f16_e32 v67, 0x3beb, v91
	v_add_f16_e32 v30, v31, v30
	v_fma_f16 v31, v72, s10, -v67
	;; [unrolled: 3-line block ×3, first 2 shown]
	v_mul_f16_e32 v82, 0xb482, v80
	v_add_f16_e32 v26, v31, v26
	v_fma_f16 v31, v51, s14, v82
	v_mul_f16_e32 v88, 0xb482, v91
	v_add_f16_e32 v93, v31, v27
	v_fma_f16 v27, v72, s14, -v88
	v_mul_f16_e32 v63, 0xb482, v85
	v_sub_f16_e32 v92, v5, v6
	v_add_f16_e32 v27, v27, v28
	v_fma_f16 v28, v55, s14, v63
	v_add_f16_e32 v74, v32, v22
	v_mul_f16_e32 v66, 0xb482, v92
	v_add_f16_e32 v28, v28, v29
	v_fma_f16 v29, v74, s14, -v66
	v_mul_f16_e32 v71, 0x3853, v92
	v_add_f16_e32 v29, v29, v30
	v_fma_f16 v30, v74, s8, -v71
	;; [unrolled: 3-line block ×4, first 2 shown]
	v_mul_f16_e32 v87, 0x3b47, v85
	v_add_f16_e32 v27, v19, v27
	v_fma_f16 v19, v55, s9, v87
	s_mov_b32 s22, 0xb853
	s_mov_b32 s20, 0xbb47
	;; [unrolled: 1-line block ×4, first 2 shown]
	s_movk_i32 s23, 0x3482
	s_movk_i32 s21, 0x3beb
	;; [unrolled: 1-line block ×3, first 2 shown]
	s_mov_b32 s19, 0xb482
	s_movk_i32 s18, 0x3853
	v_add_f16_e32 v19, v19, v93
	v_mul_lo_u16_e32 v26, 11, v13
	s_barrier
	s_and_saveexec_b64 s[0:1], vcc
	s_cbranch_execz .LBB0_7
; %bb.6:
	v_mul_f16_e32 v93, 0xbbad, v45
	v_fma_f16 v94, v56, s23, v93
	v_mul_f16_e32 v95, 0x3abb, v47
	v_add_f16_sdwa v94, v94, v0 dst_sel:DWORD dst_unused:UNUSED_PAD src0_sel:DWORD src1_sel:WORD_1
	v_fma_f16 v96, v65, s22, v95
	v_add_f16_e32 v94, v96, v94
	s_movk_i32 s22, 0x3a0c
	v_mul_f16_e32 v96, 0xb93d, v70
	v_fma_f16 v97, v89, s22, v96
	v_add_f16_e32 v94, v97, v94
	v_mul_f16_e32 v97, 0x36a6, v72
	v_fma_f16 v56, v56, s19, v93
	v_fma_f16 v98, v91, s20, v97
	;; [unrolled: 1-line block ×3, first 2 shown]
	v_add_f16_sdwa v56, v56, v0 dst_sel:DWORD dst_unused:UNUSED_PAD src0_sel:DWORD src1_sel:WORD_1
	v_add_f16_e32 v94, v98, v94
	v_mul_f16_e32 v98, 0xb08e, v74
	v_add_f16_e32 v56, v65, v56
	v_fma_f16 v65, v89, s16, v96
	v_fma_f16 v99, v92, s21, v98
	v_mul_f16_e32 v61, 0xb482, v61
	v_add_f16_e32 v56, v65, v56
	v_fma_f16 v65, v91, s17, v97
	v_add_f16_e32 v94, v99, v94
	v_fma_f16 v99, v44, s14, v61
	v_mul_f16_e32 v68, 0x3853, v68
	v_add_f16_e32 v56, v65, v56
	v_fma_f16 v65, v92, s15, v98
	v_fma_f16 v61, v44, s14, -v61
	v_mul_f16_e32 v75, 0xba0c, v75
	v_add_f16_e32 v56, v65, v56
	v_add_f16_e32 v61, v61, v0
	v_fma_f16 v65, v46, s8, -v68
	v_mul_f16_e32 v80, 0x3b47, v80
	v_add_f16_e32 v61, v65, v61
	v_fma_f16 v65, v50, s11, -v75
	v_mul_f16_e32 v85, 0xbbeb, v85
	v_add_f16_e32 v61, v65, v61
	v_fma_f16 v65, v51, s9, -v80
	v_add_f16_e32 v61, v65, v61
	v_fma_f16 v65, v55, s10, -v85
	v_add_f16_e32 v61, v65, v61
	v_mul_f16_e32 v65, 0xb93d, v45
	v_fma_f16 v100, v46, s8, v68
	v_add_f16_e32 v65, v83, v65
	v_mul_f16_e32 v68, 0xb08e, v47
	v_add_f16_e32 v68, v84, v68
	v_add_f16_sdwa v65, v65, v0 dst_sel:DWORD dst_unused:UNUSED_PAD src0_sel:DWORD src1_sel:WORD_1
	v_add_f16_e32 v65, v68, v65
	v_mul_f16_e32 v68, 0x3abb, v70
	v_add_f16_e32 v68, v86, v68
	v_add_f16_e32 v65, v68, v65
	v_mul_f16_e32 v68, 0xbbad, v72
	v_add_f16_e32 v68, v88, v68
	;; [unrolled: 3-line block ×3, first 2 shown]
	v_add_f16_e32 v65, v68, v65
	v_mul_f16_e32 v68, 0xb93d, v44
	v_sub_f16_e32 v68, v68, v78
	v_mul_f16_e32 v78, 0xb08e, v46
	v_sub_f16_e32 v77, v78, v77
	v_add_f16_e32 v68, v68, v0
	v_add_f16_e32 v68, v77, v68
	v_mul_f16_e32 v77, 0x3abb, v50
	v_sub_f16_e32 v77, v77, v81
	v_add_f16_e32 v68, v77, v68
	v_mul_f16_e32 v77, 0xbbad, v51
	v_add_f16_e32 v99, v99, v0
	v_sub_f16_e32 v77, v77, v82
	v_add_f16_e32 v99, v100, v99
	v_fma_f16 v100, v50, s11, v75
	v_add_f16_e32 v68, v77, v68
	v_mul_f16_e32 v77, 0x36a6, v55
	v_add_f16_e32 v99, v100, v99
	v_fma_f16 v100, v51, s9, v80
	v_mul_f16_e32 v80, 0x3abb, v45
	v_mul_f16_e32 v78, 0x36a6, v45
	v_mul_f16_e32 v45, 0xb08e, v45
	v_sub_f16_e32 v77, v77, v87
	v_mul_f16_e32 v82, 0x36a6, v47
	v_add_f16_e32 v68, v77, v68
	v_mul_f16_e32 v77, 0xb93d, v47
	v_mul_f16_e32 v47, 0xbbad, v47
	v_add_f16_e32 v43, v43, v45
	v_add_f16_e32 v47, v69, v47
	v_add_f16_sdwa v43, v43, v0 dst_sel:DWORD dst_unused:UNUSED_PAD src0_sel:DWORD src1_sel:WORD_1
	v_add_f16_e32 v43, v47, v43
	v_mul_f16_e32 v47, 0x36a6, v70
	v_mul_f16_e32 v75, 0x3abb, v44
	v_mul_f16_e32 v83, 0x36a6, v44
	v_mul_f16_e32 v44, 0xb08e, v44
	v_add_f16_e32 v47, v73, v47
	v_add_f16_e32 v43, v47, v43
	v_mul_f16_e32 v47, 0x3abb, v72
	v_sub_f16_e32 v40, v44, v40
	v_add_f16_e32 v37, v37, v78
	v_sub_f16_e32 v35, v83, v35
	v_add_f16_e32 v34, v34, v80
	;; [unrolled: 2-line block ×3, first 2 shown]
	v_add_f16_e32 v40, v40, v0
	v_add_f16_sdwa v37, v37, v0 dst_sel:DWORD dst_unused:UNUSED_PAD src0_sel:DWORD src1_sel:WORD_1
	v_add_f16_e32 v35, v35, v0
	v_add_f16_sdwa v34, v34, v0 dst_sel:DWORD dst_unused:UNUSED_PAD src0_sel:DWORD src1_sel:WORD_1
	v_add_f16_e32 v33, v33, v0
	v_add_f16_e32 v1, v1, v0
	v_add_f16_sdwa v0, v17, v0 dst_sel:DWORD dst_unused:UNUSED_PAD src0_sel:DWORD src1_sel:WORD_1
	v_mul_f16_e32 v81, 0x36a6, v46
	v_mul_f16_e32 v84, 0xb93d, v46
	;; [unrolled: 1-line block ×3, first 2 shown]
	v_add_f16_e32 v43, v47, v43
	v_mul_f16_e32 v47, 0xb93d, v74
	v_add_f16_e32 v1, v2, v1
	v_add_f16_e32 v0, v16, v0
	v_mul_f16_e32 v45, 0xb08e, v50
	v_mul_f16_e32 v73, 0xbbad, v50
	;; [unrolled: 1-line block ×3, first 2 shown]
	v_add_f16_e32 v47, v79, v47
	v_sub_f16_e32 v42, v46, v42
	v_add_f16_e32 v1, v3, v1
	v_add_f16_e32 v0, v10, v0
	v_mul_f16_e32 v76, 0xb93d, v51
	v_add_f16_e32 v43, v47, v43
	v_mul_f16_e32 v47, 0xb08e, v51
	v_mul_f16_e32 v51, 0x3abb, v51
	v_add_f16_e32 v40, v42, v40
	v_sub_f16_e32 v48, v50, v48
	v_add_f16_e32 v1, v4, v1
	v_add_f16_e32 v0, v18, v0
	;; [unrolled: 1-line block ×3, first 2 shown]
	v_fma_f16 v100, v55, s10, v85
	v_mul_f16_e32 v44, 0xbbad, v55
	v_mul_f16_e32 v42, 0x3abb, v55
	;; [unrolled: 1-line block ×3, first 2 shown]
	v_add_f16_e32 v40, v48, v40
	v_sub_f16_e32 v48, v51, v52
	v_add_f16_e32 v1, v5, v1
	v_add_f16_e32 v0, v22, v0
	v_mul_f16_e32 v69, 0xb08e, v70
	v_add_f16_e32 v40, v48, v40
	v_sub_f16_e32 v48, v55, v58
	v_add_f16_e32 v38, v38, v82
	v_sub_f16_e32 v36, v81, v36
	v_add_f16_e32 v1, v6, v1
	v_add_f16_e32 v0, v32, v0
	v_mul_f16_e32 v70, 0xbbad, v70
	v_mul_f16_e32 v79, 0xb93d, v72
	v_add_f16_e32 v40, v48, v40
	v_add_f16_e32 v48, v57, v77
	v_sub_f16_e32 v39, v84, v39
	v_add_f16_e32 v34, v38, v34
	v_add_f16_e32 v38, v59, v69
	;; [unrolled: 1-line block ×3, first 2 shown]
	v_sub_f16_e32 v36, v45, v54
	v_add_f16_e32 v1, v7, v1
	v_add_f16_e32 v0, v24, v0
	v_mul_f16_e32 v72, 0xb08e, v72
	v_mul_f16_e32 v46, 0xbbad, v74
	v_add_f16_e32 v37, v48, v37
	v_add_f16_e32 v48, v64, v70
	;; [unrolled: 1-line block ×3, first 2 shown]
	v_sub_f16_e32 v39, v73, v41
	v_add_f16_e32 v34, v38, v34
	v_add_f16_e32 v38, v62, v79
	;; [unrolled: 1-line block ×3, first 2 shown]
	v_sub_f16_e32 v36, v76, v60
	v_add_f16_e32 v1, v8, v1
	v_add_f16_e32 v0, v20, v0
	v_mul_f16_e32 v74, 0x3abb, v74
	v_add_f16_e32 v37, v48, v37
	v_add_f16_e32 v48, v67, v72
	;; [unrolled: 1-line block ×3, first 2 shown]
	v_sub_f16_e32 v39, v47, v49
	v_add_f16_e32 v34, v38, v34
	v_add_f16_e32 v38, v66, v46
	;; [unrolled: 1-line block ×3, first 2 shown]
	v_sub_f16_e32 v36, v44, v63
	v_add_f16_e32 v1, v9, v1
	v_add_f16_e32 v0, v21, v0
	;; [unrolled: 1-line block ×5, first 2 shown]
	v_sub_f16_e32 v39, v42, v53
	v_add_f16_e32 v34, v38, v34
	v_add_f16_e32 v33, v36, v33
	;; [unrolled: 1-line block ×6, first 2 shown]
	v_lshlrev_b32_e32 v2, 2, v26
	v_pack_b32_f16 v3, v33, v34
	v_pack_b32_f16 v0, v1, v0
	ds_write2_b32 v2, v0, v3 offset1:1
	v_pack_b32_f16 v0, v40, v43
	v_pack_b32_f16 v1, v35, v37
	v_add_f16_e32 v99, v100, v99
	ds_write2_b32 v2, v1, v0 offset0:2 offset1:3
	v_pack_b32_f16 v0, v68, v65
	v_pack_b32_f16 v1, v61, v56
	s_mov_b32 s8, 0x5040100
	ds_write2_b32 v2, v0, v1 offset0:4 offset1:5
	v_pack_b32_f16 v0, v99, v94
	v_perm_b32 v1, v27, v19, s8
	ds_write2_b32 v2, v0, v1 offset0:6 offset1:7
	v_perm_b32 v0, v30, v15, s8
	v_perm_b32 v1, v31, v14, s8
	ds_write2_b32 v2, v1, v0 offset0:8 offset1:9
	v_perm_b32 v0, v29, v28, s8
	ds_write_b32 v2, v0 offset:40
.LBB0_7:
	s_or_b64 exec, exec, s[0:1]
	s_movk_i32 s0, 0x75
	v_mul_lo_u16_sdwa v0, v13, s0 dst_sel:DWORD dst_unused:UNUSED_PAD src0_sel:BYTE_0 src1_sel:DWORD
	v_sub_u16_sdwa v1, v13, v0 dst_sel:DWORD dst_unused:UNUSED_PAD src0_sel:DWORD src1_sel:BYTE_1
	v_lshrrev_b16_e32 v1, 1, v1
	v_and_b32_e32 v1, 0x7f, v1
	v_add_u16_sdwa v0, v1, v0 dst_sel:DWORD dst_unused:UNUSED_PAD src0_sel:DWORD src1_sel:BYTE_1
	v_lshrrev_b16_e32 v5, 3, v0
	v_mul_lo_u16_e32 v0, 11, v5
	v_sub_u16_e32 v0, v13, v0
	v_and_b32_e32 v10, 0xff, v0
	v_mul_u32_u24_e32 v0, 6, v10
	v_lshlrev_b32_e32 v4, 2, v0
	s_load_dwordx4 s[8:11], s[6:7], 0x0
	s_waitcnt lgkmcnt(0)
	s_barrier
	global_load_dwordx4 v[0:3], v4, s[4:5]
	global_load_dwordx2 v[16:17], v4, s[4:5] offset:16
	v_add_u32_e32 v8, 0x200, v11
	v_add_u32_e32 v4, 0x400, v11
	ds_read2_b32 v[6:7], v11 offset1:88
	ds_read_b32 v18, v11 offset:2112
	ds_read2_b32 v[8:9], v8 offset0:48 offset1:136
	ds_read2_b32 v[20:21], v4 offset0:96 offset1:184
	s_movk_i32 s0, 0x2b26
	s_waitcnt lgkmcnt(3)
	v_lshrrev_b32_e32 v22, 16, v7
	s_waitcnt lgkmcnt(2)
	v_lshrrev_b32_e32 v23, 16, v18
	;; [unrolled: 2-line block ×3, first 2 shown]
	v_lshrrev_b32_e32 v25, 16, v9
	s_waitcnt lgkmcnt(0)
	v_lshrrev_b32_e32 v32, 16, v20
	v_lshrrev_b32_e32 v33, 16, v21
	s_mov_b32 s6, 0xbcab
	s_movk_i32 s1, 0x3b00
	v_mul_u32_u24_e32 v5, 0x4d, v5
	s_barrier
	s_waitcnt vmcnt(1)
	v_mul_f16_sdwa v34, v22, v0 dst_sel:DWORD dst_unused:UNUSED_PAD src0_sel:DWORD src1_sel:WORD_1
	v_mul_f16_sdwa v35, v7, v0 dst_sel:DWORD dst_unused:UNUSED_PAD src0_sel:DWORD src1_sel:WORD_1
	;; [unrolled: 1-line block ×8, first 2 shown]
	s_waitcnt vmcnt(0)
	v_mul_f16_sdwa v42, v33, v16 dst_sel:DWORD dst_unused:UNUSED_PAD src0_sel:DWORD src1_sel:WORD_1
	v_mul_f16_sdwa v43, v21, v16 dst_sel:DWORD dst_unused:UNUSED_PAD src0_sel:DWORD src1_sel:WORD_1
	;; [unrolled: 1-line block ×4, first 2 shown]
	v_fma_f16 v7, v7, v0, -v34
	v_fma_f16 v22, v22, v0, v35
	v_fma_f16 v8, v8, v1, -v36
	v_fma_f16 v24, v24, v1, v37
	;; [unrolled: 2-line block ×6, first 2 shown]
	v_add_f16_e32 v34, v7, v18
	v_add_f16_e32 v35, v22, v23
	v_sub_f16_e32 v7, v7, v18
	v_sub_f16_e32 v18, v22, v23
	v_add_f16_e32 v22, v8, v21
	v_add_f16_e32 v23, v24, v33
	v_sub_f16_e32 v8, v8, v21
	v_sub_f16_e32 v21, v24, v33
	;; [unrolled: 4-line block ×4, first 2 shown]
	v_sub_f16_e32 v34, v34, v24
	v_sub_f16_e32 v35, v35, v33
	;; [unrolled: 1-line block ×4, first 2 shown]
	v_add_f16_e32 v38, v9, v8
	v_add_f16_e32 v24, v24, v25
	;; [unrolled: 1-line block ×3, first 2 shown]
	v_mul_f16_e32 v32, 0x3a52, v34
	v_mul_f16_e32 v34, 0x3a52, v35
	v_add_f16_e32 v39, v20, v21
	v_sub_f16_e32 v40, v9, v8
	v_sub_f16_e32 v41, v20, v21
	;; [unrolled: 1-line block ×5, first 2 shown]
	v_add_f16_e32 v7, v38, v7
	v_mul_f16_e32 v35, 0x2b26, v22
	v_mul_f16_e32 v38, 0x2b26, v23
	v_add_f16_e32 v20, v6, v24
	v_add_f16_sdwa v33, v6, v25 dst_sel:DWORD dst_unused:UNUSED_PAD src0_sel:WORD_1 src1_sel:DWORD
	v_fma_f16 v22, v22, s0, v32
	v_fma_f16 v23, v23, s0, v34
	s_movk_i32 s0, 0x39e0
	v_fma_f16 v6, v24, s6, v20
	v_fma_f16 v24, v25, s6, v33
	v_fma_f16 v25, v36, s0, -v35
	v_fma_f16 v35, v37, s0, -v38
	s_mov_b32 s0, 0xb9e0
	v_sub_f16_e32 v21, v21, v18
	v_add_f16_e32 v18, v39, v18
	v_mul_f16_e32 v39, 0xb846, v40
	v_mul_f16_e32 v40, 0xb846, v41
	v_fma_f16 v32, v36, s0, -v32
	v_fma_f16 v34, v37, s0, -v34
	s_movk_i32 s0, 0x3574
	v_mul_f16_e32 v41, 0x3b00, v8
	v_mul_f16_e32 v43, 0x3b00, v21
	v_fma_f16 v36, v9, s0, v39
	v_fma_f16 v37, v42, s0, v40
	s_mov_b32 s0, 0xb574
	v_fma_f16 v9, v9, s0, -v41
	v_fma_f16 v38, v42, s0, -v43
	s_movk_i32 s0, 0x370e
	v_fma_f16 v8, v8, s1, -v39
	v_fma_f16 v21, v21, s1, -v40
	v_add_f16_e32 v39, v22, v6
	v_add_f16_e32 v40, v23, v24
	v_fma_f16 v42, v7, s0, v36
	v_fma_f16 v43, v18, s0, v37
	v_add_f16_e32 v25, v25, v6
	v_add_f16_e32 v41, v35, v24
	;; [unrolled: 1-line block ×4, first 2 shown]
	v_fma_f16 v8, v7, s0, v8
	v_fma_f16 v24, v18, s0, v21
	;; [unrolled: 1-line block ×4, first 2 shown]
	v_add_f16_e32 v21, v43, v39
	v_sub_f16_e32 v34, v40, v42
	v_add_f16_e32 v22, v9, v6
	v_sub_f16_e32 v35, v32, v7
	v_sub_f16_e32 v23, v25, v24
	v_add_f16_e32 v36, v8, v41
	v_add_f16_e32 v24, v24, v25
	v_sub_f16_e32 v25, v6, v9
	v_add_f16_e32 v38, v7, v32
	v_add_lshl_u32 v32, v5, v10, 2
	v_pack_b32_f16 v5, v20, v33
	v_pack_b32_f16 v6, v21, v34
	v_sub_f16_e32 v37, v41, v8
	ds_write2_b32 v32, v5, v6 offset1:11
	v_pack_b32_f16 v5, v22, v35
	v_pack_b32_f16 v6, v23, v36
	v_sub_f16_e32 v18, v39, v43
	v_add_f16_e32 v39, v42, v40
	s_movk_i32 s0, 0x4d
	ds_write2_b32 v32, v5, v6 offset0:22 offset1:33
	v_pack_b32_f16 v5, v24, v37
	v_pack_b32_f16 v6, v25, v38
	ds_write2_b32 v32, v5, v6 offset0:44 offset1:55
	v_pack_b32_f16 v5, v18, v39
	v_cmp_gt_u16_e64 s[0:1], s0, v13
	ds_write_b32 v32, v5 offset:264
	s_waitcnt lgkmcnt(0)
	s_barrier
	s_and_saveexec_b64 s[6:7], s[0:1]
	s_cbranch_execz .LBB0_9
; %bb.8:
	ds_read2_b32 v[20:21], v11 offset1:77
	ds_read2_b32 v[22:23], v11 offset0:154 offset1:231
	ds_read2_b32 v[24:25], v4 offset0:52 offset1:129
	v_add_u32_e32 v4, 0x600, v11
	ds_read2_b32 v[18:19], v4 offset0:78 offset1:155
	s_waitcnt lgkmcnt(3)
	v_lshrrev_b32_e32 v33, 16, v20
	v_lshrrev_b32_e32 v34, 16, v21
	s_waitcnt lgkmcnt(2)
	v_lshrrev_b32_e32 v35, 16, v22
	v_lshrrev_b32_e32 v36, 16, v23
	;; [unrolled: 3-line block ×4, first 2 shown]
.LBB0_9:
	s_or_b64 exec, exec, s[6:7]
	v_add_u32_e32 v4, 0xffffffb3, v13
	v_cndmask_b32_e64 v4, v4, v13, s[0:1]
	v_mul_hi_i32_i24_e32 v5, 28, v4
	v_mul_i32_i24_e32 v4, 28, v4
	v_lshl_add_u64 v[40:41], s[4:5], 0, v[4:5]
	global_load_dwordx4 v[4:7], v[40:41], off offset:264
	global_load_dwordx3 v[8:10], v[40:41], off offset:280
	s_mov_b32 s4, 0xb9a8
	s_movk_i32 s5, 0x39a8
	s_waitcnt vmcnt(1)
	v_mul_f16_sdwa v40, v34, v4 dst_sel:DWORD dst_unused:UNUSED_PAD src0_sel:DWORD src1_sel:WORD_1
	v_mul_f16_sdwa v41, v21, v4 dst_sel:DWORD dst_unused:UNUSED_PAD src0_sel:DWORD src1_sel:WORD_1
	v_mul_f16_sdwa v42, v35, v5 dst_sel:DWORD dst_unused:UNUSED_PAD src0_sel:DWORD src1_sel:WORD_1
	v_mul_f16_sdwa v43, v22, v5 dst_sel:DWORD dst_unused:UNUSED_PAD src0_sel:DWORD src1_sel:WORD_1
	v_mul_f16_sdwa v44, v36, v6 dst_sel:DWORD dst_unused:UNUSED_PAD src0_sel:DWORD src1_sel:WORD_1
	v_mul_f16_sdwa v45, v23, v6 dst_sel:DWORD dst_unused:UNUSED_PAD src0_sel:DWORD src1_sel:WORD_1
	v_mul_f16_sdwa v46, v37, v7 dst_sel:DWORD dst_unused:UNUSED_PAD src0_sel:DWORD src1_sel:WORD_1
	v_mul_f16_sdwa v47, v24, v7 dst_sel:DWORD dst_unused:UNUSED_PAD src0_sel:DWORD src1_sel:WORD_1
	s_waitcnt vmcnt(0)
	v_mul_f16_sdwa v48, v38, v8 dst_sel:DWORD dst_unused:UNUSED_PAD src0_sel:DWORD src1_sel:WORD_1
	v_mul_f16_sdwa v49, v25, v8 dst_sel:DWORD dst_unused:UNUSED_PAD src0_sel:DWORD src1_sel:WORD_1
	;; [unrolled: 1-line block ×6, first 2 shown]
	v_fma_f16 v21, v21, v4, -v40
	v_fma_f16 v34, v34, v4, v41
	v_fma_f16 v22, v22, v5, -v42
	v_fma_f16 v35, v35, v5, v43
	;; [unrolled: 2-line block ×7, first 2 shown]
	v_sub_f16_e32 v24, v20, v24
	v_sub_f16_e32 v37, v33, v37
	;; [unrolled: 1-line block ×8, first 2 shown]
	v_fma_f16 v20, v20, 2.0, -v24
	v_fma_f16 v33, v33, 2.0, -v37
	;; [unrolled: 1-line block ×8, first 2 shown]
	v_sub_f16_e32 v41, v24, v39
	v_add_f16_e32 v42, v37, v18
	v_sub_f16_e32 v18, v25, v27
	v_add_f16_e32 v19, v38, v19
	v_sub_f16_e32 v27, v20, v22
	v_sub_f16_e32 v43, v33, v35
	v_fma_f16 v44, v24, 2.0, -v41
	v_fma_f16 v37, v37, 2.0, -v42
	v_sub_f16_e32 v22, v21, v23
	v_sub_f16_e32 v23, v34, v36
	v_fma_f16 v36, v25, 2.0, -v18
	v_fma_f16 v38, v38, 2.0, -v19
	v_fma_f16 v25, v18, s5, v41
	v_fma_f16 v35, v19, s5, v42
	v_fma_f16 v45, v20, 2.0, -v27
	v_fma_f16 v33, v33, 2.0, -v43
	;; [unrolled: 1-line block ×4, first 2 shown]
	v_fma_f16 v34, v36, s4, v44
	v_fma_f16 v46, v38, s4, v37
	v_sub_f16_e32 v24, v27, v23
	v_add_f16_e32 v39, v43, v22
	v_fma_f16 v25, v19, s4, v25
	v_fma_f16 v40, v18, s5, v35
	v_sub_f16_e32 v22, v45, v20
	v_sub_f16_e32 v35, v33, v21
	v_fma_f16 v23, v38, s4, v34
	v_fma_f16 v38, v36, s5, v46
	v_fma_f16 v20, v27, 2.0, -v24
	v_fma_f16 v34, v43, 2.0, -v39
	;; [unrolled: 1-line block ×8, first 2 shown]
	s_and_saveexec_b64 s[4:5], s[0:1]
	s_cbranch_execz .LBB0_11
; %bb.10:
	s_mov_b32 s6, 0x5040100
	v_perm_b32 v27, v33, v18, s6
	v_perm_b32 v41, v36, v19, s6
	ds_write2_b32 v11, v27, v41 offset1:77
	v_perm_b32 v27, v34, v20, s6
	v_perm_b32 v41, v37, v21, s6
	ds_write2_b32 v11, v27, v41 offset0:154 offset1:231
	v_perm_b32 v27, v35, v22, s6
	v_perm_b32 v41, v38, v23, s6
	v_add_u32_e32 v42, 0x400, v11
	ds_write2_b32 v42, v27, v41 offset0:52 offset1:129
	v_perm_b32 v27, v39, v24, s6
	v_perm_b32 v41, v40, v25, s6
	v_add_u32_e32 v42, 0x600, v11
	ds_write2_b32 v42, v27, v41 offset0:78 offset1:155
.LBB0_11:
	s_or_b64 exec, exec, s[4:5]
	s_waitcnt lgkmcnt(0)
	s_barrier
	s_and_saveexec_b64 s[4:5], vcc
	s_cbranch_execz .LBB0_13
; %bb.12:
	global_load_dword v27, v11, s[12:13] offset:2464
	s_add_u32 s6, s12, 0x9a0
	s_addc_u32 s7, s13, 0
	global_load_dword v41, v11, s[6:7] offset:224
	global_load_dword v52, v11, s[6:7] offset:448
	;; [unrolled: 1-line block ×10, first 2 shown]
	ds_read_b32 v42, v11
	v_add_u32_e32 v61, 0x400, v11
	v_add_u32_e32 v62, 0x600, v11
	s_waitcnt lgkmcnt(0)
	v_lshrrev_b32_e32 v43, 16, v42
	s_waitcnt vmcnt(10)
	v_mul_f16_sdwa v44, v43, v27 dst_sel:DWORD dst_unused:UNUSED_PAD src0_sel:DWORD src1_sel:WORD_1
	v_mul_f16_sdwa v45, v42, v27 dst_sel:DWORD dst_unused:UNUSED_PAD src0_sel:DWORD src1_sel:WORD_1
	v_fma_f16 v42, v42, v27, -v44
	v_fma_f16 v27, v43, v27, v45
	v_pack_b32_f16 v27, v42, v27
	ds_write_b32 v11, v27
	ds_read2_b32 v[42:43], v11 offset0:56 offset1:112
	ds_read2_b32 v[44:45], v11 offset0:168 offset1:224
	;; [unrolled: 1-line block ×5, first 2 shown]
	s_waitcnt lgkmcnt(4)
	v_lshrrev_b32_e32 v27, 16, v42
	s_waitcnt vmcnt(9)
	v_mul_f16_sdwa v63, v42, v41 dst_sel:DWORD dst_unused:UNUSED_PAD src0_sel:DWORD src1_sel:WORD_1
	v_lshrrev_b32_e32 v64, 16, v43
	s_waitcnt vmcnt(8)
	v_mul_f16_sdwa v65, v43, v52 dst_sel:DWORD dst_unused:UNUSED_PAD src0_sel:DWORD src1_sel:WORD_1
	s_waitcnt lgkmcnt(3)
	v_lshrrev_b32_e32 v66, 16, v44
	s_waitcnt vmcnt(7)
	v_mul_f16_sdwa v67, v44, v53 dst_sel:DWORD dst_unused:UNUSED_PAD src0_sel:DWORD src1_sel:WORD_1
	v_lshrrev_b32_e32 v68, 16, v45
	s_waitcnt vmcnt(6)
	v_mul_f16_sdwa v69, v45, v54 dst_sel:DWORD dst_unused:UNUSED_PAD src0_sel:DWORD src1_sel:WORD_1
	;; [unrolled: 7-line block ×4, first 2 shown]
	s_waitcnt lgkmcnt(0)
	v_lshrrev_b32_e32 v78, 16, v50
	s_waitcnt vmcnt(1)
	v_mul_f16_sdwa v79, v50, v59 dst_sel:DWORD dst_unused:UNUSED_PAD src0_sel:DWORD src1_sel:WORD_1
	v_lshrrev_b32_e32 v80, 16, v51
	v_mul_f16_sdwa v82, v27, v41 dst_sel:DWORD dst_unused:UNUSED_PAD src0_sel:DWORD src1_sel:WORD_1
	v_fma_f16 v27, v27, v41, v63
	v_mul_f16_sdwa v63, v64, v52 dst_sel:DWORD dst_unused:UNUSED_PAD src0_sel:DWORD src1_sel:WORD_1
	s_waitcnt vmcnt(0)
	v_mul_f16_sdwa v81, v51, v60 dst_sel:DWORD dst_unused:UNUSED_PAD src0_sel:DWORD src1_sel:WORD_1
	v_fma_f16 v64, v64, v52, v65
	v_mul_f16_sdwa v65, v66, v53 dst_sel:DWORD dst_unused:UNUSED_PAD src0_sel:DWORD src1_sel:WORD_1
	v_fma_f16 v66, v66, v53, v67
	;; [unrolled: 2-line block ×8, first 2 shown]
	v_mul_f16_sdwa v79, v80, v60 dst_sel:DWORD dst_unused:UNUSED_PAD src0_sel:DWORD src1_sel:WORD_1
	v_fma_f16 v41, v42, v41, -v82
	v_fma_f16 v42, v43, v52, -v63
	v_fma_f16 v80, v80, v60, v81
	v_fma_f16 v43, v44, v53, -v65
	v_fma_f16 v44, v45, v54, -v67
	;; [unrolled: 1-line block ×8, first 2 shown]
	v_pack_b32_f16 v27, v41, v27
	v_pack_b32_f16 v41, v42, v64
	;; [unrolled: 1-line block ×10, first 2 shown]
	ds_write2_b32 v11, v27, v41 offset0:56 offset1:112
	ds_write2_b32 v11, v42, v43 offset0:168 offset1:224
	;; [unrolled: 1-line block ×5, first 2 shown]
.LBB0_13:
	s_or_b64 exec, exec, s[4:5]
	s_waitcnt lgkmcnt(0)
	s_barrier
	s_and_saveexec_b64 s[4:5], vcc
	s_cbranch_execz .LBB0_15
; %bb.14:
	v_add_u32_e32 v14, 0x200, v11
	ds_read2_b32 v[18:19], v11 offset1:56
	ds_read2_b32 v[20:21], v11 offset0:112 offset1:168
	ds_read2_b32 v[22:23], v14 offset0:96 offset1:152
	v_add_u32_e32 v14, 0x400, v11
	ds_read2_b32 v[24:25], v14 offset0:80 offset1:136
	ds_read2_b32 v[14:15], v14 offset0:192 offset1:248
	ds_read_b32 v28, v11 offset:2240
	s_waitcnt lgkmcnt(5)
	v_lshrrev_b32_e32 v33, 16, v18
	v_lshrrev_b32_e32 v36, 16, v19
	s_waitcnt lgkmcnt(4)
	v_lshrrev_b32_e32 v34, 16, v20
	v_lshrrev_b32_e32 v37, 16, v21
	;; [unrolled: 3-line block ×5, first 2 shown]
	s_waitcnt lgkmcnt(0)
	v_lshrrev_b32_e32 v29, 16, v28
.LBB0_15:
	s_or_b64 exec, exec, s[4:5]
	v_sub_f16_e32 v52, v36, v29
	v_add_f16_e32 v42, v28, v19
	v_add_f16_e32 v54, v29, v36
	s_mov_b32 s6, 0xb93d
	v_mul_f16_e32 v62, 0xba0c, v52
	v_sub_f16_e32 v53, v34, v30
	v_sub_f16_e32 v44, v19, v28
	s_mov_b32 s7, 0xba0c
	v_mul_f16_e32 v64, 0xb93d, v54
	v_fma_f16 v27, v42, s6, -v62
	v_add_f16_e32 v43, v15, v20
	v_add_f16_e32 v56, v30, v34
	s_mov_b32 s14, 0xb08e
	v_mul_f16_e32 v63, 0x3beb, v53
	v_add_f16_e32 v27, v18, v27
	v_fma_f16 v41, v44, s7, v64
	v_sub_f16_e32 v46, v20, v15
	s_movk_i32 s18, 0x3beb
	v_mul_f16_e32 v66, 0xb08e, v56
	v_fma_f16 v45, v43, s14, -v63
	v_add_f16_e32 v41, v33, v41
	v_add_f16_e32 v27, v45, v27
	v_fma_f16 v45, v46, s18, v66
	v_sub_f16_e32 v55, v37, v31
	v_add_f16_e32 v41, v45, v41
	v_add_f16_e32 v45, v14, v21
	;; [unrolled: 1-line block ×3, first 2 shown]
	s_movk_i32 s15, 0x3abb
	v_mul_f16_e32 v65, 0xb853, v55
	v_sub_f16_e32 v48, v21, v14
	s_mov_b32 s17, 0xb853
	v_mul_f16_e32 v68, 0x3abb, v58
	v_fma_f16 v47, v45, s15, -v65
	v_add_f16_e32 v27, v47, v27
	v_fma_f16 v47, v48, s17, v68
	v_sub_f16_e32 v57, v35, v40
	v_add_f16_e32 v41, v47, v41
	v_add_f16_e32 v47, v25, v22
	;; [unrolled: 1-line block ×3, first 2 shown]
	s_mov_b32 s16, 0xbbad
	v_mul_f16_e32 v67, 0xb482, v57
	v_sub_f16_e32 v50, v22, v25
	v_mul_f16_e32 v70, 0xbbad, v60
	v_fma_f16 v49, v47, s16, -v67
	v_add_f16_e32 v27, v49, v27
	v_fma_f16 v49, v50, s19, v70
	v_sub_f16_e32 v59, v38, v39
	v_add_f16_e32 v41, v49, v41
	v_add_f16_e32 v49, v24, v23
	v_add_f16_e32 v61, v39, v38
	s_movk_i32 s20, 0x36a6
	v_mul_f16_e32 v69, 0x3b47, v59
	v_sub_f16_e32 v51, v23, v24
	s_movk_i32 s22, 0x3b47
	v_mul_f16_e32 v71, 0x36a6, v61
	v_fma_f16 v72, v49, s20, -v69
	v_add_f16_e32 v27, v72, v27
	v_fma_f16 v72, v51, s22, v71
	v_add_f16_e32 v41, v72, v41
	s_barrier
	s_and_saveexec_b64 s[4:5], vcc
	s_cbranch_execz .LBB0_17
; %bb.16:
	v_mul_f16_e32 v72, 0xb93d, v42
	v_mul_f16_e32 v73, 0xba0c, v44
	;; [unrolled: 1-line block ×3, first 2 shown]
	v_add_f16_e32 v62, v72, v62
	v_mul_f16_e32 v75, 0x3beb, v46
	v_mul_f16_e32 v76, 0x3abb, v45
	v_sub_f16_e32 v64, v64, v73
	v_add_f16_e32 v62, v18, v62
	v_add_f16_e32 v63, v74, v63
	v_mul_f16_e32 v77, 0xb853, v48
	v_mul_f16_e32 v78, 0xbbad, v47
	v_add_f16_e32 v64, v33, v64
	v_sub_f16_e32 v66, v66, v75
	v_add_f16_e32 v62, v63, v62
	v_add_f16_e32 v63, v76, v65
	v_mul_f16_e32 v79, 0xb482, v50
	v_mul_f16_e32 v80, 0x36a6, v49
	v_add_f16_e32 v64, v66, v64
	v_sub_f16_e32 v66, v68, v77
	v_add_f16_e32 v62, v63, v62
	v_add_f16_e32 v63, v78, v67
	v_mul_f16_e32 v81, 0x3b47, v51
	v_add_f16_e32 v64, v66, v64
	v_sub_f16_e32 v66, v70, v79
	v_add_f16_e32 v62, v63, v62
	v_add_f16_e32 v63, v80, v69
	;; [unrolled: 1-line block ×3, first 2 shown]
	v_sub_f16_e32 v66, v71, v81
	v_add_f16_e32 v62, v63, v62
	v_mul_f16_e32 v63, 0xb08e, v54
	v_add_f16_e32 v64, v66, v64
	v_fma_f16 v65, v44, s18, v63
	v_mul_f16_e32 v66, 0xbbad, v56
	v_add_f16_e32 v65, v33, v65
	v_fma_f16 v67, v46, s19, v66
	v_add_f16_e32 v65, v67, v65
	v_mul_f16_e32 v67, 0x36a6, v58
	s_mov_b32 s24, 0xbb47
	v_fma_f16 v68, v48, s24, v67
	s_movk_i32 s23, 0x3853
	v_add_f16_e32 v65, v68, v65
	v_mul_f16_e32 v68, 0x3abb, v60
	v_fma_f16 v69, v50, s23, v68
	v_add_f16_e32 v65, v69, v65
	v_mul_f16_e32 v69, 0xb93d, v61
	s_movk_i32 s25, 0x3a0c
	v_mul_f16_e32 v82, 0xb482, v44
	v_fma_f16 v70, v51, s25, v69
	v_fma_f16 v83, v54, s16, v82
	v_mul_f16_e32 v84, 0x3853, v46
	v_add_f16_e32 v65, v70, v65
	v_mul_f16_e32 v70, 0xbbeb, v52
	v_add_f16_e32 v83, v33, v83
	v_fma_f16 v85, v56, s15, v84
	v_fma_f16 v71, v42, s14, v70
	v_mul_f16_e32 v72, 0x3482, v53
	v_add_f16_e32 v19, v19, v18
	v_add_f16_e32 v83, v85, v83
	v_mul_f16_e32 v85, 0xba0c, v48
	v_add_f16_e32 v71, v18, v71
	v_fma_f16 v73, v43, s16, v72
	v_add_f16_e32 v19, v20, v19
	v_fma_f16 v86, v58, s6, v85
	v_add_f16_e32 v71, v73, v71
	v_mul_f16_e32 v73, 0x3b47, v55
	v_add_f16_e32 v19, v21, v19
	v_add_f16_e32 v83, v86, v83
	v_mul_f16_e32 v86, 0x3b47, v50
	v_fma_f16 v74, v45, s20, v73
	v_add_f16_e32 v19, v22, v19
	v_fma_f16 v87, v60, s20, v86
	v_add_f16_e32 v71, v74, v71
	v_mul_f16_e32 v74, 0xb853, v57
	v_add_f16_e32 v19, v23, v19
	v_add_f16_e32 v83, v87, v83
	v_mul_f16_e32 v87, 0xbbeb, v51
	v_fma_f16 v75, v47, s15, v74
	v_add_f16_e32 v19, v24, v19
	s_mov_b32 s21, 0xbbeb
	v_fma_f16 v88, v61, s14, v87
	v_fma_f16 v82, v54, s16, -v82
	v_add_f16_e32 v71, v75, v71
	v_mul_f16_e32 v75, 0xba0c, v59
	v_add_f16_e32 v19, v25, v19
	v_add_f16_e32 v83, v88, v83
	v_mul_f16_e32 v88, 0xb482, v52
	v_add_f16_e32 v82, v33, v82
	v_fma_f16 v84, v56, s15, -v84
	s_movk_i32 s26, 0x3482
	v_fma_f16 v76, v49, s6, v75
	v_add_f16_e32 v14, v14, v19
	v_fma_f16 v19, v44, s21, v63
	v_fma_f16 v89, v42, s16, -v88
	v_mul_f16_e32 v90, 0x3853, v53
	v_add_f16_e32 v82, v84, v82
	v_fma_f16 v84, v58, s6, -v85
	v_add_f16_e32 v71, v76, v71
	v_mul_f16_e32 v76, 0x36a6, v54
	v_add_f16_e32 v19, v33, v19
	v_fma_f16 v20, v46, s26, v66
	v_add_f16_e32 v89, v18, v89
	v_fma_f16 v91, v43, s15, -v90
	v_add_f16_e32 v82, v84, v82
	v_fma_f16 v84, v60, s20, -v86
	v_fma_f16 v77, v44, s22, v76
	v_mul_f16_e32 v78, 0xb93d, v56
	v_add_f16_e32 v19, v20, v19
	v_fma_f16 v20, v48, s22, v67
	v_add_f16_e32 v89, v91, v89
	v_mul_f16_e32 v91, 0xba0c, v55
	v_add_f16_e32 v82, v84, v82
	v_fma_f16 v84, v61, s14, -v87
	v_add_f16_e32 v77, v33, v77
	v_fma_f16 v79, v46, s25, v78
	v_add_f16_e32 v19, v20, v19
	v_fma_f16 v20, v50, s17, v68
	v_fma_f16 v92, v45, s6, -v91
	v_add_f16_e32 v82, v84, v82
	v_fma_f16 v84, v42, s16, v88
	v_add_f16_e32 v77, v79, v77
	v_mul_f16_e32 v79, 0xbbad, v58
	v_add_f16_e32 v19, v20, v19
	v_fma_f16 v20, v51, s7, v69
	v_add_f16_e32 v89, v92, v89
	v_mul_f16_e32 v92, 0x3b47, v57
	v_add_f16_e32 v84, v18, v84
	v_fma_f16 v85, v43, s15, v90
	v_fma_f16 v80, v48, s19, v79
	v_add_f16_e32 v19, v20, v19
	v_fma_f16 v20, v42, s14, -v70
	v_fma_f16 v93, v47, s20, -v92
	v_add_f16_e32 v84, v85, v84
	v_fma_f16 v85, v45, s6, v91
	v_add_f16_e32 v77, v80, v77
	v_mul_f16_e32 v80, 0xb08e, v60
	v_add_f16_e32 v20, v18, v20
	v_fma_f16 v21, v43, s16, -v72
	v_add_f16_e32 v89, v93, v89
	v_mul_f16_e32 v93, 0xbbeb, v59
	v_add_f16_e32 v84, v85, v84
	v_fma_f16 v85, v47, s20, v92
	v_fma_f16 v81, v50, s21, v80
	v_add_f16_e32 v20, v21, v20
	v_fma_f16 v21, v45, s20, -v73
	v_add_f16_e32 v84, v85, v84
	v_fma_f16 v85, v49, s14, v93
	v_add_f16_e32 v77, v81, v77
	v_mul_f16_e32 v81, 0x3abb, v61
	v_add_f16_e32 v20, v21, v20
	v_fma_f16 v21, v47, s15, -v74
	v_add_f16_e32 v84, v85, v84
	v_fma_f16 v85, v51, s17, v81
	v_add_f16_e32 v20, v21, v20
	v_fma_f16 v21, v49, s6, -v75
	v_add_f16_e32 v77, v85, v77
	v_mul_f16_e32 v85, 0xbb47, v52
	v_add_f16_e32 v20, v21, v20
	v_fma_f16 v21, v44, s24, v76
	v_fma_f16 v86, v42, s20, v85
	v_mul_f16_e32 v87, 0xba0c, v53
	v_add_f16_e32 v21, v33, v21
	v_fma_f16 v22, v46, s7, v78
	v_add_f16_e32 v86, v18, v86
	v_fma_f16 v88, v43, s6, v87
	;; [unrolled: 2-line block ×3, first 2 shown]
	v_add_f16_e32 v86, v88, v86
	v_mul_f16_e32 v88, 0x3482, v55
	v_add_f16_e32 v21, v22, v21
	v_fma_f16 v22, v50, s18, v80
	v_fma_f16 v90, v45, s16, v88
	v_add_f16_e32 v21, v22, v21
	v_fma_f16 v22, v51, s23, v81
	v_add_f16_e32 v86, v90, v86
	v_mul_f16_e32 v90, 0x3beb, v57
	v_add_f16_e32 v21, v22, v21
	v_fma_f16 v22, v42, s20, -v85
	v_fma_f16 v91, v47, s14, v90
	v_add_f16_e32 v22, v18, v22
	v_fma_f16 v23, v43, s6, -v87
	v_add_f16_e32 v86, v91, v86
	v_mul_f16_e32 v91, 0x3853, v59
	v_add_f16_e32 v22, v23, v22
	v_fma_f16 v23, v45, s16, -v88
	v_fma_f16 v92, v49, s15, v91
	v_mul_f16_e32 v54, 0x3abb, v54
	v_add_f16_e32 v22, v23, v22
	v_fma_f16 v23, v47, s14, -v90
	v_add_f16_e32 v86, v92, v86
	v_fma_f16 v92, v44, s23, v54
	v_mul_f16_e32 v56, 0x36a6, v56
	v_add_f16_e32 v22, v23, v22
	v_fma_f16 v23, v49, s15, -v91
	v_fma_f16 v94, v49, s14, -v93
	v_add_f16_e32 v92, v33, v92
	v_fma_f16 v93, v46, s22, v56
	v_mul_f16_e32 v58, 0xb08e, v58
	v_add_f16_e32 v14, v15, v14
	v_add_f16_e32 v15, v36, v33
	;; [unrolled: 1-line block ×3, first 2 shown]
	v_fma_f16 v23, v44, s17, v54
	v_add_f16_e32 v92, v93, v92
	v_fma_f16 v93, v48, s18, v58
	v_mul_f16_e32 v60, 0xb93d, v60
	v_add_f16_e32 v15, v34, v15
	v_add_f16_e32 v23, v33, v23
	v_fma_f16 v24, v46, s24, v56
	v_add_f16_e32 v92, v93, v92
	v_fma_f16 v93, v50, s25, v60
	v_mul_f16_e32 v61, 0xbbad, v61
	v_add_f16_e32 v15, v37, v15
	v_add_f16_e32 v23, v24, v23
	;; [unrolled: 6-line block ×4, first 2 shown]
	v_fma_f16 v24, v51, s19, v61
	v_add_f16_e32 v89, v94, v89
	v_add_f16_e32 v93, v18, v93
	v_fma_f16 v94, v43, s20, v53
	v_mul_f16_e32 v55, 0xbbeb, v55
	v_add_f16_e32 v15, v39, v15
	v_add_f16_e32 v23, v24, v23
	v_fma_f16 v24, v42, s15, -v52
	v_add_f16_e32 v93, v94, v93
	v_fma_f16 v94, v45, s14, v55
	v_mul_f16_e32 v57, 0xba0c, v57
	v_add_f16_e32 v15, v40, v15
	v_add_f16_e32 v18, v18, v24
	v_fma_f16 v24, v43, s20, -v53
	;; [unrolled: 6-line block ×3, first 2 shown]
	v_add_f16_e32 v93, v94, v93
	v_fma_f16 v94, v49, s16, v59
	v_add_f16_e32 v15, v30, v15
	v_add_f16_e32 v18, v24, v18
	v_fma_f16 v24, v47, s6, -v57
	v_add_f16_e32 v93, v94, v93
	v_add_f16_e32 v14, v28, v14
	;; [unrolled: 1-line block ×4, first 2 shown]
	v_fma_f16 v24, v49, s16, -v59
	v_add_f16_e32 v18, v24, v18
	v_lshlrev_b32_e32 v24, 2, v26
	v_pack_b32_f16 v25, v93, v92
	v_pack_b32_f16 v14, v14, v15
	ds_write2_b32 v24, v14, v25 offset1:1
	v_pack_b32_f16 v14, v71, v65
	v_pack_b32_f16 v15, v86, v77
	ds_write2_b32 v24, v15, v14 offset0:2 offset1:3
	v_pack_b32_f16 v14, v62, v64
	v_pack_b32_f16 v15, v84, v82
	s_mov_b32 s6, 0x5040100
	ds_write2_b32 v24, v14, v15 offset0:4 offset1:5
	v_pack_b32_f16 v14, v89, v83
	v_perm_b32 v15, v41, v27, s6
	ds_write2_b32 v24, v14, v15 offset0:6 offset1:7
	v_pack_b32_f16 v14, v22, v21
	v_pack_b32_f16 v15, v20, v19
	ds_write2_b32 v24, v15, v14 offset0:8 offset1:9
	v_pack_b32_f16 v14, v18, v23
	ds_write_b32 v24, v14 offset:40
.LBB0_17:
	s_or_b64 exec, exec, s[4:5]
	s_waitcnt lgkmcnt(0)
	s_barrier
	ds_read2_b32 v[14:15], v11 offset1:88
	v_add_u32_e32 v18, 0x200, v11
	ds_read2_b32 v[20:21], v18 offset0:48 offset1:136
	v_add_u32_e32 v18, 0x400, v11
	ds_read2_b32 v[22:23], v18 offset0:96 offset1:184
	s_waitcnt lgkmcnt(2)
	v_lshrrev_b32_e32 v19, 16, v15
	ds_read_b32 v24, v11 offset:2112
	v_mul_f16_sdwa v31, v0, v19 dst_sel:DWORD dst_unused:UNUSED_PAD src0_sel:WORD_1 src1_sel:DWORD
	s_waitcnt lgkmcnt(2)
	v_lshrrev_b32_e32 v25, 16, v20
	v_fma_f16 v31, v0, v15, v31
	v_mul_f16_sdwa v15, v0, v15 dst_sel:DWORD dst_unused:UNUSED_PAD src0_sel:WORD_1 src1_sel:DWORD
	v_lshrrev_b32_e32 v26, 16, v21
	v_fma_f16 v0, v0, v19, -v15
	v_mul_f16_sdwa v15, v1, v25 dst_sel:DWORD dst_unused:UNUSED_PAD src0_sel:WORD_1 src1_sel:DWORD
	v_mul_f16_sdwa v19, v1, v20 dst_sel:DWORD dst_unused:UNUSED_PAD src0_sel:WORD_1 src1_sel:DWORD
	s_waitcnt lgkmcnt(1)
	v_lshrrev_b32_e32 v28, 16, v22
	v_fma_f16 v15, v1, v20, v15
	v_fma_f16 v1, v1, v25, -v19
	v_mul_f16_sdwa v19, v2, v26 dst_sel:DWORD dst_unused:UNUSED_PAD src0_sel:WORD_1 src1_sel:DWORD
	v_mul_f16_sdwa v20, v2, v21 dst_sel:DWORD dst_unused:UNUSED_PAD src0_sel:WORD_1 src1_sel:DWORD
	v_lshrrev_b32_e32 v29, 16, v23
	v_fma_f16 v19, v2, v21, v19
	v_fma_f16 v2, v2, v26, -v20
	v_mul_f16_sdwa v20, v3, v28 dst_sel:DWORD dst_unused:UNUSED_PAD src0_sel:WORD_1 src1_sel:DWORD
	v_mul_f16_sdwa v21, v3, v22 dst_sel:DWORD dst_unused:UNUSED_PAD src0_sel:WORD_1 src1_sel:DWORD
	s_waitcnt lgkmcnt(0)
	v_lshrrev_b32_e32 v30, 16, v24
	v_fma_f16 v20, v3, v22, v20
	v_fma_f16 v3, v3, v28, -v21
	v_mul_f16_sdwa v21, v16, v29 dst_sel:DWORD dst_unused:UNUSED_PAD src0_sel:WORD_1 src1_sel:DWORD
	v_mul_f16_sdwa v22, v16, v23 dst_sel:DWORD dst_unused:UNUSED_PAD src0_sel:WORD_1 src1_sel:DWORD
	v_fma_f16 v21, v16, v23, v21
	v_fma_f16 v16, v16, v29, -v22
	v_mul_f16_sdwa v22, v17, v30 dst_sel:DWORD dst_unused:UNUSED_PAD src0_sel:WORD_1 src1_sel:DWORD
	v_mul_f16_sdwa v23, v17, v24 dst_sel:DWORD dst_unused:UNUSED_PAD src0_sel:WORD_1 src1_sel:DWORD
	v_fma_f16 v22, v17, v24, v22
	v_fma_f16 v17, v17, v30, -v23
	v_add_f16_e32 v23, v31, v22
	v_add_f16_e32 v24, v0, v17
	v_sub_f16_e32 v0, v0, v17
	v_add_f16_e32 v17, v15, v21
	v_add_f16_e32 v25, v1, v16
	v_sub_f16_e32 v15, v15, v21
	v_sub_f16_e32 v1, v1, v16
	v_add_f16_e32 v16, v19, v20
	v_add_f16_e32 v21, v2, v3
	v_sub_f16_e32 v19, v20, v19
	;; [unrolled: 4-line block ×3, first 2 shown]
	v_sub_f16_e32 v26, v17, v23
	v_sub_f16_e32 v28, v25, v24
	;; [unrolled: 1-line block ×4, first 2 shown]
	v_add_f16_e32 v29, v19, v15
	v_add_f16_e32 v30, v2, v1
	v_add_f16_e32 v3, v16, v3
	v_add_f16_e32 v20, v21, v20
	v_sub_f16_e32 v17, v16, v17
	v_sub_f16_e32 v25, v21, v25
	;; [unrolled: 1-line block ×8, first 2 shown]
	v_add_f16_e32 v21, v29, v22
	v_add_f16_e32 v22, v30, v0
	;; [unrolled: 1-line block ×3, first 2 shown]
	v_add_f16_sdwa v16, v14, v20 dst_sel:DWORD dst_unused:UNUSED_PAD src0_sel:WORD_1 src1_sel:DWORD
	v_mul_f16_e32 v14, 0x3a52, v23
	v_mul_f16_e32 v23, 0x3a52, v24
	s_movk_i32 s4, 0x2b26
	v_mul_f16_e32 v24, 0x2b26, v17
	v_mul_f16_e32 v29, 0x2b26, v25
	v_fma_f16 v17, v17, s4, v14
	v_fma_f16 v25, v25, s4, v23
	s_movk_i32 s4, 0x39e0
	v_fma_f16 v24, v26, s4, -v24
	v_fma_f16 v29, v28, s4, -v29
	s_mov_b32 s4, 0xb9e0
	v_mul_f16_e32 v30, 0x3846, v31
	v_mul_f16_e32 v31, 0x3846, v33
	v_fma_f16 v14, v26, s4, -v14
	v_fma_f16 v23, v28, s4, -v23
	s_mov_b32 s4, 0xb574
	v_mul_f16_e32 v33, 0xbb00, v15
	v_mul_f16_e32 v34, 0xbb00, v1
	s_mov_b32 s6, 0xbcab
	v_fma_f16 v26, v19, s4, v30
	v_fma_f16 v28, v2, s4, v31
	s_movk_i32 s4, 0x3574
	s_mov_b32 s5, 0xbb00
	v_fma_f16 v3, v3, s6, v0
	v_fma_f16 v20, v20, s6, v16
	v_fma_f16 v19, v19, s4, -v33
	v_fma_f16 v2, v2, s4, -v34
	s_mov_b32 s4, 0xb70e
	v_fma_f16 v15, v15, s5, -v30
	v_fma_f16 v1, v1, s5, -v31
	v_add_f16_e32 v30, v17, v3
	v_add_f16_e32 v25, v25, v20
	v_fma_f16 v34, v21, s4, v26
	v_fma_f16 v26, v22, s4, v28
	v_add_f16_e32 v24, v24, v3
	v_add_f16_e32 v29, v29, v20
	;; [unrolled: 1-line block ×4, first 2 shown]
	v_fma_f16 v15, v21, s4, v15
	v_fma_f16 v14, v22, s4, v1
	;; [unrolled: 1-line block ×4, first 2 shown]
	v_add_f16_e32 v1, v26, v30
	v_sub_f16_e32 v20, v25, v34
	v_add_f16_e32 v2, v22, v31
	v_sub_f16_e32 v17, v33, v21
	v_sub_f16_e32 v3, v24, v14
	v_add_f16_e32 v23, v15, v29
	v_add_f16_e32 v14, v14, v24
	v_sub_f16_e32 v19, v29, v15
	v_sub_f16_e32 v15, v31, v22
	v_add_f16_e32 v22, v21, v33
	v_add_f16_e32 v21, v34, v25
	v_pack_b32_f16 v24, v0, v16
	v_pack_b32_f16 v25, v1, v20
	s_barrier
	ds_write2_b32 v32, v24, v25 offset1:11
	v_pack_b32_f16 v24, v2, v17
	v_pack_b32_f16 v25, v3, v23
	v_sub_f16_e32 v26, v30, v26
	ds_write2_b32 v32, v24, v25 offset0:22 offset1:33
	v_pack_b32_f16 v24, v14, v19
	v_pack_b32_f16 v25, v15, v22
	ds_write2_b32 v32, v24, v25 offset0:44 offset1:55
	v_pack_b32_f16 v24, v26, v21
	ds_write_b32 v32, v24 offset:264
	s_waitcnt lgkmcnt(0)
	s_barrier
	s_and_saveexec_b64 s[4:5], s[0:1]
	s_cbranch_execz .LBB0_19
; %bb.18:
	v_add_u32_e32 v17, 0x600, v11
	ds_read2_b32 v[0:1], v11 offset1:77
	ds_read2_b32 v[2:3], v11 offset0:154 offset1:231
	ds_read2_b32 v[14:15], v18 offset0:52 offset1:129
	;; [unrolled: 1-line block ×3, first 2 shown]
	s_waitcnt lgkmcnt(3)
	v_lshrrev_b32_e32 v16, 16, v0
	v_lshrrev_b32_e32 v20, 16, v1
	s_waitcnt lgkmcnt(2)
	v_lshrrev_b32_e32 v17, 16, v2
	v_lshrrev_b32_e32 v23, 16, v3
	;; [unrolled: 3-line block ×4, first 2 shown]
.LBB0_19:
	s_or_b64 exec, exec, s[4:5]
	s_and_saveexec_b64 s[4:5], s[0:1]
	s_cbranch_execz .LBB0_21
; %bb.20:
	v_mul_f16_sdwa v25, v7, v19 dst_sel:DWORD dst_unused:UNUSED_PAD src0_sel:WORD_1 src1_sel:DWORD
	v_mul_f16_sdwa v31, v6, v23 dst_sel:DWORD dst_unused:UNUSED_PAD src0_sel:WORD_1 src1_sel:DWORD
	v_fma_f16 v25, v7, v14, v25
	v_fma_f16 v31, v6, v3, v31
	v_mul_f16_sdwa v3, v6, v3 dst_sel:DWORD dst_unused:UNUSED_PAD src0_sel:WORD_1 src1_sel:DWORD
	v_mul_f16_sdwa v14, v7, v14 dst_sel:DWORD dst_unused:UNUSED_PAD src0_sel:WORD_1 src1_sel:DWORD
	;; [unrolled: 1-line block ×4, first 2 shown]
	v_fma_f16 v3, v6, v23, -v3
	v_mul_f16_sdwa v6, v10, v27 dst_sel:DWORD dst_unused:UNUSED_PAD src0_sel:WORD_1 src1_sel:DWORD
	v_fma_f16 v7, v7, v19, -v14
	v_mul_f16_sdwa v14, v5, v17 dst_sel:DWORD dst_unused:UNUSED_PAD src0_sel:WORD_1 src1_sel:DWORD
	;; [unrolled: 2-line block ×3, first 2 shown]
	v_mul_f16_sdwa v30, v8, v15 dst_sel:DWORD dst_unused:UNUSED_PAD src0_sel:WORD_1 src1_sel:DWORD
	v_fma_f16 v32, v10, v27, v32
	v_fma_f16 v6, v10, v41, -v6
	v_mul_f16_sdwa v10, v4, v20 dst_sel:DWORD dst_unused:UNUSED_PAD src0_sel:WORD_1 src1_sel:DWORD
	v_fma_f16 v2, v5, v2, v14
	v_mul_f16_sdwa v5, v9, v21 dst_sel:DWORD dst_unused:UNUSED_PAD src0_sel:WORD_1 src1_sel:DWORD
	v_mul_f16_sdwa v24, v9, v26 dst_sel:DWORD dst_unused:UNUSED_PAD src0_sel:WORD_1 src1_sel:DWORD
	v_fma_f16 v29, v4, v20, -v29
	v_fma_f16 v30, v8, v22, -v30
	v_fma_f16 v1, v4, v1, v10
	v_mul_f16_sdwa v4, v8, v22 dst_sel:DWORD dst_unused:UNUSED_PAD src0_sel:WORD_1 src1_sel:DWORD
	v_fma_f16 v5, v9, v26, v5
	v_fma_f16 v24, v9, v21, -v24
	v_sub_f16_e32 v25, v0, v25
	v_sub_f16_e32 v30, v29, v30
	;; [unrolled: 1-line block ×4, first 2 shown]
	v_fma_f16 v4, v8, v15, v4
	v_sub_f16_e32 v7, v16, v7
	v_sub_f16_e32 v5, v2, v5
	;; [unrolled: 1-line block ×5, first 2 shown]
	s_movk_i32 s0, 0x39a8
	v_sub_f16_e32 v9, v7, v5
	v_fma_f16 v0, v0, 2.0, -v25
	v_fma_f16 v2, v2, 2.0, -v5
	;; [unrolled: 1-line block ×4, first 2 shown]
	v_add_f16_e32 v28, v24, v25
	v_add_f16_e32 v8, v6, v4
	v_fma_f16 v14, v33, s0, v9
	s_mov_b32 s1, 0xb9a8
	v_sub_f16_e32 v2, v0, v2
	v_sub_f16_e32 v3, v5, v3
	v_fma_f16 v16, v16, 2.0, -v7
	v_fma_f16 v18, v18, 2.0, -v24
	;; [unrolled: 1-line block ×4, first 2 shown]
	v_fma_f16 v14, v8, s1, v14
	v_add_f16_e32 v6, v2, v3
	v_sub_f16_e32 v18, v16, v18
	v_sub_f16_e32 v20, v1, v20
	v_fma_f16 v23, v25, 2.0, -v28
	v_fma_f16 v24, v30, 2.0, -v33
	;; [unrolled: 1-line block ×4, first 2 shown]
	v_fma_f16 v10, v8, s0, v28
	v_fma_f16 v17, v9, 2.0, -v14
	v_fma_f16 v19, v2, 2.0, -v6
	v_fma_f16 v8, v4, s1, v23
	v_fma_f16 v9, v24, s1, v7
	v_fma_f16 v0, v0, 2.0, -v2
	v_fma_f16 v1, v1, 2.0, -v20
	;; [unrolled: 1-line block ×4, first 2 shown]
	v_fma_f16 v8, v24, s0, v8
	v_fma_f16 v4, v4, s1, v9
	v_sub_f16_e32 v1, v0, v1
	v_sub_f16_e32 v3, v2, v3
	v_fma_f16 v10, v33, s0, v10
	v_sub_f16_e32 v21, v18, v20
	v_fma_f16 v23, v23, 2.0, -v8
	v_fma_f16 v7, v7, 2.0, -v4
	;; [unrolled: 1-line block ×6, first 2 shown]
	v_pack_b32_f16 v0, v0, v2
	v_pack_b32_f16 v2, v23, v7
	ds_write2_b32 v11, v0, v2 offset1:77
	v_pack_b32_f16 v0, v19, v22
	v_pack_b32_f16 v2, v15, v17
	ds_write2_b32 v11, v0, v2 offset0:154 offset1:231
	v_pack_b32_f16 v0, v1, v3
	v_pack_b32_f16 v1, v8, v4
	v_add_u32_e32 v2, 0x400, v11
	ds_write2_b32 v2, v0, v1 offset0:52 offset1:129
	v_pack_b32_f16 v0, v6, v21
	v_pack_b32_f16 v1, v10, v14
	v_add_u32_e32 v2, 0x600, v11
	ds_write2_b32 v2, v0, v1 offset0:78 offset1:155
.LBB0_21:
	s_or_b64 exec, exec, s[4:5]
	s_waitcnt lgkmcnt(0)
	s_barrier
	s_and_b64 exec, exec, vcc
	s_cbranch_execz .LBB0_23
; %bb.22:
	global_load_dword v15, v11, s[12:13]
	ds_read_b32 v17, v11
	global_load_dword v7, v11, s[12:13] offset:224
	global_load_dword v9, v11, s[12:13] offset:448
	;; [unrolled: 1-line block ×6, first 2 shown]
	v_mad_u64_u32 v[2:3], s[0:1], s10, v12, 0
	v_mov_b32_e32 v18, v3
	s_waitcnt lgkmcnt(0)
	v_lshrrev_b32_e32 v3, 16, v17
	s_mov_b32 s6, 0x606a63be
	s_mov_b32 s7, 0x3f5a98ef
	s_movk_i32 s10, 0x1ff
	s_movk_i32 s14, 0xffe
	s_mov_b32 s16, 0x8000
	v_mad_u64_u32 v[4:5], s[0:1], s8, v13, 0
	v_mov_b32_e32 v0, s2
	v_mov_b32_e32 v1, s3
	;; [unrolled: 1-line block ×3, first 2 shown]
	s_movk_i32 s15, 0x40f
	s_waitcnt vmcnt(6)
	v_mul_f16_sdwa v19, v3, v15 dst_sel:DWORD dst_unused:UNUSED_PAD src0_sel:DWORD src1_sel:WORD_1
	v_mul_f16_sdwa v20, v17, v15 dst_sel:DWORD dst_unused:UNUSED_PAD src0_sel:DWORD src1_sel:WORD_1
	v_fma_f16 v17, v17, v15, v19
	v_fma_f16 v3, v15, v3, -v20
	v_cvt_f32_f16_e32 v15, v17
	v_cvt_f32_f16_e32 v17, v3
	v_mad_u64_u32 v[18:19], s[0:1], s11, v12, v[18:19]
	v_mov_b32_e32 v3, v18
	v_cvt_f64_f32_e32 v[18:19], v15
	v_cvt_f64_f32_e32 v[20:21], v17
	v_mul_f64 v[18:19], v[18:19], s[6:7]
	v_mul_f64 v[20:21], v[20:21], s[6:7]
	v_and_or_b32 v12, v19, s10, v18
	v_and_or_b32 v18, v21, s10, v20
	v_cmp_ne_u32_e32 vcc, 0, v12
	v_lshrrev_b32_e32 v15, 8, v19
	v_bfe_u32 v17, v19, 20, 11
	v_cndmask_b32_e64 v12, 0, 1, vcc
	v_cmp_ne_u32_e32 vcc, 0, v18
	v_and_b32_sdwa v22, v19, s16 dst_sel:DWORD dst_unused:UNUSED_PAD src0_sel:WORD_1 src1_sel:DWORD
	v_lshrrev_b32_e32 v19, 8, v21
	v_bfe_u32 v20, v21, 20, 11
	v_sub_u32_e32 v23, 0x3f1, v17
	v_cndmask_b32_e64 v18, 0, 1, vcc
	v_and_or_b32 v12, v15, s14, v12
	v_sub_u32_e32 v24, 0x3f1, v20
	v_med3_i32 v15, v23, 0, 13
	v_and_or_b32 v18, v19, s14, v18
	v_or_b32_e32 v23, 0x1000, v12
	v_add_u32_e32 v17, 0xfffffc10, v17
	v_med3_i32 v19, v24, 0, 13
	v_cmp_ne_u32_e32 vcc, 0, v12
	v_or_b32_e32 v25, 0x1000, v18
	v_lshrrev_b32_e32 v27, v15, v23
	v_add_u32_e32 v20, 0xfffffc10, v20
	v_lshl_or_b32 v24, v17, 12, v12
	v_cndmask_b32_e64 v12, 0, 1, vcc
	v_cmp_ne_u32_e32 vcc, 0, v18
	v_lshrrev_b32_e32 v28, v19, v25
	v_lshlrev_b32_e32 v15, v15, v27
	v_lshl_or_b32 v26, v20, 12, v18
	v_cndmask_b32_e64 v18, 0, 1, vcc
	v_lshlrev_b32_e32 v19, v19, v28
	v_cmp_ne_u32_e32 vcc, v15, v23
	v_lshl_or_b32 v12, v12, 9, v6
	v_lshl_or_b32 v18, v18, 9, v6
	v_cndmask_b32_e64 v15, 0, 1, vcc
	v_cmp_ne_u32_e32 vcc, v19, v25
	v_or_b32_e32 v15, v27, v15
	v_lshrrev_b32_e32 v21, 16, v21
	v_cndmask_b32_e64 v19, 0, 1, vcc
	v_cmp_gt_i32_e32 vcc, 1, v17
	v_or_b32_e32 v19, v28, v19
	v_lshl_add_u64 v[0:1], v[2:3], 2, v[0:1]
	v_cndmask_b32_e32 v15, v24, v15, vcc
	v_cmp_gt_i32_e32 vcc, 1, v20
	v_and_b32_e32 v23, 7, v15
	v_cmp_eq_u32_e64 s[0:1], 3, v23
	v_cndmask_b32_e32 v19, v26, v19, vcc
	v_cmp_lt_i32_e32 vcc, 5, v23
	v_lshrrev_b32_e32 v15, 2, v15
	v_and_b32_e32 v24, 7, v19
	s_or_b64 vcc, s[0:1], vcc
	v_cmp_lt_i32_e64 s[2:3], 5, v24
	v_cmp_eq_u32_e64 s[4:5], 3, v24
	v_addc_co_u32_e32 v15, vcc, 0, v15, vcc
	v_lshrrev_b32_e32 v19, 2, v19
	s_or_b64 vcc, s[4:5], s[2:3]
	v_addc_co_u32_e32 v19, vcc, 0, v19, vcc
	v_cmp_gt_i32_e32 vcc, 31, v17
	s_mov_b32 s2, 0xffff
	s_mul_i32 s3, s9, 0xe0
	v_cndmask_b32_e32 v15, v6, v15, vcc
	v_cmp_gt_i32_e32 vcc, 31, v20
	s_nop 1
	v_cndmask_b32_e32 v19, v6, v19, vcc
	v_cmp_eq_u32_e32 vcc, s15, v17
	s_nop 1
	v_cndmask_b32_e32 v15, v15, v12, vcc
	v_cmp_eq_u32_e32 vcc, s15, v20
	s_nop 1
	v_cndmask_b32_e32 v12, v19, v18, vcc
	v_and_or_b32 v17, v21, s16, v12
	ds_read2_b32 v[20:21], v11 offset0:56 offset1:112
	v_mov_b32_e32 v12, v5
	v_mad_u64_u32 v[18:19], s[0:1], s9, v13, v[12:13]
	v_bitop3_b32 v12, v22, s2, v15 bitop3:0xc8
	s_waitcnt lgkmcnt(0)
	v_lshrrev_b32_e32 v15, 16, v20
	v_lshl_or_b32 v12, v17, 16, v12
	s_waitcnt vmcnt(5)
	v_mul_f16_sdwa v17, v15, v7 dst_sel:DWORD dst_unused:UNUSED_PAD src0_sel:DWORD src1_sel:WORD_1
	v_fma_f16 v17, v20, v7, v17
	v_cvt_f32_f16_e32 v17, v17
	v_mov_b32_e32 v5, v18
	v_lshl_add_u64 v[2:3], v[4:5], 2, v[0:1]
	global_store_dword v[2:3], v12, off
	v_cvt_f64_f32_e32 v[4:5], v17
	v_mul_f64 v[4:5], v[4:5], s[6:7]
	v_and_or_b32 v4, v5, s10, v4
	v_cmp_ne_u32_e32 vcc, 0, v4
	v_lshrrev_b32_e32 v12, 8, v5
	v_bfe_u32 v17, v5, 20, 11
	v_cndmask_b32_e64 v4, 0, 1, vcc
	v_and_or_b32 v4, v12, s14, v4
	v_sub_u32_e32 v18, 0x3f1, v17
	v_or_b32_e32 v12, 0x1000, v4
	v_med3_i32 v18, v18, 0, 13
	v_lshrrev_b32_e32 v19, v18, v12
	v_lshlrev_b32_e32 v18, v18, v19
	v_cmp_ne_u32_e32 vcc, v18, v12
	v_add_u32_e32 v17, 0xfffffc10, v17
	v_lshl_or_b32 v18, v17, 12, v4
	v_cndmask_b32_e64 v12, 0, 1, vcc
	v_or_b32_e32 v12, v19, v12
	v_cmp_gt_i32_e32 vcc, 1, v17
	s_nop 1
	v_cndmask_b32_e32 v12, v18, v12, vcc
	v_and_b32_e32 v18, 7, v12
	v_cmp_lt_i32_e32 vcc, 5, v18
	v_cmp_eq_u32_e64 s[0:1], 3, v18
	v_lshrrev_b32_e32 v12, 2, v12
	s_or_b64 vcc, s[0:1], vcc
	v_mul_f16_sdwa v18, v20, v7 dst_sel:DWORD dst_unused:UNUSED_PAD src0_sel:DWORD src1_sel:WORD_1
	v_addc_co_u32_e32 v12, vcc, 0, v12, vcc
	v_fma_f16 v7, v7, v15, -v18
	v_cmp_gt_i32_e32 vcc, 31, v17
	v_cvt_f32_f16_e32 v7, v7
	v_and_b32_sdwa v15, v5, s16 dst_sel:DWORD dst_unused:UNUSED_PAD src0_sel:WORD_1 src1_sel:DWORD
	v_cndmask_b32_e32 v12, v6, v12, vcc
	v_cmp_ne_u32_e32 vcc, 0, v4
	s_nop 1
	v_cndmask_b32_e64 v4, 0, 1, vcc
	v_lshl_or_b32 v4, v4, 9, v6
	v_cmp_eq_u32_e32 vcc, s15, v17
	s_nop 1
	v_cndmask_b32_e32 v12, v12, v4, vcc
	v_cvt_f64_f32_e32 v[4:5], v7
	v_mul_f64 v[4:5], v[4:5], s[6:7]
	v_and_or_b32 v4, v5, s10, v4
	v_cmp_ne_u32_e32 vcc, 0, v4
	v_lshrrev_b32_e32 v7, 8, v5
	v_bfe_u32 v17, v5, 20, 11
	v_cndmask_b32_e64 v4, 0, 1, vcc
	v_and_or_b32 v4, v7, s14, v4
	v_sub_u32_e32 v18, 0x3f1, v17
	v_or_b32_e32 v7, 0x1000, v4
	v_med3_i32 v18, v18, 0, 13
	v_lshrrev_b32_e32 v19, v18, v7
	v_lshlrev_b32_e32 v18, v18, v19
	v_cmp_ne_u32_e32 vcc, v18, v7
	v_add_u32_e32 v17, 0xfffffc10, v17
	v_lshl_or_b32 v18, v17, 12, v4
	v_cndmask_b32_e64 v7, 0, 1, vcc
	v_or_b32_e32 v7, v19, v7
	v_cmp_gt_i32_e32 vcc, 1, v17
	v_lshrrev_b32_e32 v5, 16, v5
	s_nop 0
	v_cndmask_b32_e32 v7, v18, v7, vcc
	v_and_b32_e32 v18, 7, v7
	v_cmp_lt_i32_e32 vcc, 5, v18
	v_cmp_eq_u32_e64 s[0:1], 3, v18
	v_lshrrev_b32_e32 v7, 2, v7
	s_or_b64 vcc, s[0:1], vcc
	v_addc_co_u32_e32 v7, vcc, 0, v7, vcc
	v_cmp_gt_i32_e32 vcc, 31, v17
	s_nop 1
	v_cndmask_b32_e32 v7, v6, v7, vcc
	v_cmp_ne_u32_e32 vcc, 0, v4
	s_nop 1
	v_cndmask_b32_e64 v4, 0, 1, vcc
	v_lshl_or_b32 v4, v4, 9, v6
	v_cmp_eq_u32_e32 vcc, s15, v17
	s_nop 1
	v_cndmask_b32_e32 v4, v7, v4, vcc
	v_and_or_b32 v4, v5, s16, v4
	v_bitop3_b32 v5, v15, s2, v12 bitop3:0xc8
	v_lshrrev_b32_e32 v12, 16, v21
	v_lshl_or_b32 v4, v4, 16, v5
	s_waitcnt vmcnt(5)
	v_mul_f16_sdwa v5, v12, v9 dst_sel:DWORD dst_unused:UNUSED_PAD src0_sel:DWORD src1_sel:WORD_1
	v_fma_f16 v5, v21, v9, v5
	v_cvt_f32_f16_e32 v5, v5
	v_mov_b32_e32 v7, 0xe0
	v_mad_u64_u32 v[2:3], s[0:1], s8, v7, v[2:3]
	v_add_u32_e32 v3, s3, v3
	global_store_dword v[2:3], v4, off
	v_cvt_f64_f32_e32 v[4:5], v5
	v_mul_f64 v[4:5], v[4:5], s[6:7]
	v_and_or_b32 v4, v5, s10, v4
	v_cmp_ne_u32_e32 vcc, 0, v4
	v_lshrrev_b32_e32 v15, 8, v5
	v_bfe_u32 v17, v5, 20, 11
	v_cndmask_b32_e64 v4, 0, 1, vcc
	v_and_or_b32 v4, v15, s14, v4
	v_sub_u32_e32 v18, 0x3f1, v17
	v_or_b32_e32 v15, 0x1000, v4
	v_med3_i32 v18, v18, 0, 13
	v_lshrrev_b32_e32 v19, v18, v15
	v_lshlrev_b32_e32 v18, v18, v19
	v_cmp_ne_u32_e32 vcc, v18, v15
	v_add_u32_e32 v17, 0xfffffc10, v17
	v_lshl_or_b32 v18, v17, 12, v4
	v_cndmask_b32_e64 v15, 0, 1, vcc
	v_or_b32_e32 v15, v19, v15
	v_cmp_gt_i32_e32 vcc, 1, v17
	s_nop 1
	v_cndmask_b32_e32 v15, v18, v15, vcc
	v_and_b32_e32 v18, 7, v15
	v_cmp_lt_i32_e32 vcc, 5, v18
	v_cmp_eq_u32_e64 s[0:1], 3, v18
	v_lshrrev_b32_e32 v15, 2, v15
	s_or_b64 vcc, s[0:1], vcc
	v_mul_f16_sdwa v18, v21, v9 dst_sel:DWORD dst_unused:UNUSED_PAD src0_sel:DWORD src1_sel:WORD_1
	v_addc_co_u32_e32 v15, vcc, 0, v15, vcc
	v_fma_f16 v9, v9, v12, -v18
	v_cmp_gt_i32_e32 vcc, 31, v17
	v_cvt_f32_f16_e32 v9, v9
	s_nop 0
	v_cndmask_b32_e32 v15, v6, v15, vcc
	v_cmp_ne_u32_e32 vcc, 0, v4
	s_nop 1
	v_cndmask_b32_e64 v4, 0, 1, vcc
	v_lshl_or_b32 v4, v4, 9, v6
	v_cmp_eq_u32_e32 vcc, s15, v17
	s_nop 1
	v_cndmask_b32_e32 v12, v15, v4, vcc
	v_and_b32_sdwa v15, v5, s16 dst_sel:DWORD dst_unused:UNUSED_PAD src0_sel:WORD_1 src1_sel:DWORD
	v_cvt_f64_f32_e32 v[4:5], v9
	v_mul_f64 v[4:5], v[4:5], s[6:7]
	v_and_or_b32 v4, v5, s10, v4
	v_cmp_ne_u32_e32 vcc, 0, v4
	v_lshrrev_b32_e32 v9, 8, v5
	v_bfe_u32 v17, v5, 20, 11
	v_cndmask_b32_e64 v4, 0, 1, vcc
	v_and_or_b32 v4, v9, s14, v4
	v_sub_u32_e32 v18, 0x3f1, v17
	v_or_b32_e32 v9, 0x1000, v4
	v_med3_i32 v18, v18, 0, 13
	v_lshrrev_b32_e32 v19, v18, v9
	v_lshlrev_b32_e32 v18, v18, v19
	v_cmp_ne_u32_e32 vcc, v18, v9
	v_add_u32_e32 v17, 0xfffffc10, v17
	v_lshl_or_b32 v18, v17, 12, v4
	v_cndmask_b32_e64 v9, 0, 1, vcc
	v_or_b32_e32 v9, v19, v9
	v_cmp_gt_i32_e32 vcc, 1, v17
	v_lshrrev_b32_e32 v5, 16, v5
	s_nop 0
	v_cndmask_b32_e32 v9, v18, v9, vcc
	v_and_b32_e32 v18, 7, v9
	v_cmp_lt_i32_e32 vcc, 5, v18
	v_cmp_eq_u32_e64 s[0:1], 3, v18
	v_lshrrev_b32_e32 v9, 2, v9
	s_or_b64 vcc, s[0:1], vcc
	v_addc_co_u32_e32 v9, vcc, 0, v9, vcc
	v_cmp_gt_i32_e32 vcc, 31, v17
	ds_read2_b32 v[18:19], v11 offset0:168 offset1:224
	v_mad_u64_u32 v[2:3], s[0:1], s8, v7, v[2:3]
	v_cndmask_b32_e32 v9, v6, v9, vcc
	v_cmp_ne_u32_e32 vcc, 0, v4
	v_add_u32_e32 v3, s3, v3
	s_nop 0
	v_cndmask_b32_e64 v4, 0, 1, vcc
	v_lshl_or_b32 v4, v4, 9, v6
	v_cmp_eq_u32_e32 vcc, s15, v17
	s_nop 1
	v_cndmask_b32_e32 v4, v9, v4, vcc
	v_and_or_b32 v4, v5, s16, v4
	v_bitop3_b32 v5, v15, s2, v12 bitop3:0xc8
	s_waitcnt lgkmcnt(0)
	v_lshrrev_b32_e32 v9, 16, v18
	v_lshl_or_b32 v4, v4, 16, v5
	s_waitcnt vmcnt(5)
	v_mul_f16_sdwa v5, v9, v10 dst_sel:DWORD dst_unused:UNUSED_PAD src0_sel:DWORD src1_sel:WORD_1
	v_fma_f16 v5, v18, v10, v5
	v_cvt_f32_f16_e32 v5, v5
	global_store_dword v[2:3], v4, off
	v_cvt_f64_f32_e32 v[4:5], v5
	v_mul_f64 v[4:5], v[4:5], s[6:7]
	v_and_or_b32 v4, v5, s10, v4
	v_cmp_ne_u32_e32 vcc, 0, v4
	v_lshrrev_b32_e32 v12, 8, v5
	v_bfe_u32 v15, v5, 20, 11
	v_cndmask_b32_e64 v4, 0, 1, vcc
	v_and_or_b32 v4, v12, s14, v4
	v_sub_u32_e32 v17, 0x3f1, v15
	v_or_b32_e32 v12, 0x1000, v4
	v_med3_i32 v17, v17, 0, 13
	v_lshrrev_b32_e32 v20, v17, v12
	v_lshlrev_b32_e32 v17, v17, v20
	v_cmp_ne_u32_e32 vcc, v17, v12
	v_add_u32_e32 v15, 0xfffffc10, v15
	v_lshl_or_b32 v17, v15, 12, v4
	v_cndmask_b32_e64 v12, 0, 1, vcc
	v_or_b32_e32 v12, v20, v12
	v_cmp_gt_i32_e32 vcc, 1, v15
	s_nop 1
	v_cndmask_b32_e32 v12, v17, v12, vcc
	v_and_b32_e32 v17, 7, v12
	v_cmp_lt_i32_e32 vcc, 5, v17
	v_cmp_eq_u32_e64 s[0:1], 3, v17
	v_lshrrev_b32_e32 v12, 2, v12
	s_or_b64 vcc, s[0:1], vcc
	v_mul_f16_sdwa v17, v18, v10 dst_sel:DWORD dst_unused:UNUSED_PAD src0_sel:DWORD src1_sel:WORD_1
	v_addc_co_u32_e32 v12, vcc, 0, v12, vcc
	v_fma_f16 v9, v10, v9, -v17
	v_cmp_gt_i32_e32 vcc, 31, v15
	v_cvt_f32_f16_e32 v9, v9
	s_nop 0
	v_cndmask_b32_e32 v12, v6, v12, vcc
	v_cmp_ne_u32_e32 vcc, 0, v4
	s_nop 1
	v_cndmask_b32_e64 v4, 0, 1, vcc
	v_lshl_or_b32 v4, v4, 9, v6
	v_cmp_eq_u32_e32 vcc, s15, v15
	s_nop 1
	v_cndmask_b32_e32 v10, v12, v4, vcc
	v_and_b32_sdwa v12, v5, s16 dst_sel:DWORD dst_unused:UNUSED_PAD src0_sel:WORD_1 src1_sel:DWORD
	v_cvt_f64_f32_e32 v[4:5], v9
	v_mul_f64 v[4:5], v[4:5], s[6:7]
	v_and_or_b32 v4, v5, s10, v4
	v_cmp_ne_u32_e32 vcc, 0, v4
	v_lshrrev_b32_e32 v9, 8, v5
	v_bfe_u32 v15, v5, 20, 11
	v_cndmask_b32_e64 v4, 0, 1, vcc
	v_and_or_b32 v4, v9, s14, v4
	v_sub_u32_e32 v17, 0x3f1, v15
	v_or_b32_e32 v9, 0x1000, v4
	v_med3_i32 v17, v17, 0, 13
	v_lshrrev_b32_e32 v18, v17, v9
	v_lshlrev_b32_e32 v17, v17, v18
	v_cmp_ne_u32_e32 vcc, v17, v9
	v_add_u32_e32 v15, 0xfffffc10, v15
	v_lshl_or_b32 v17, v15, 12, v4
	v_cndmask_b32_e64 v9, 0, 1, vcc
	v_or_b32_e32 v9, v18, v9
	v_cmp_gt_i32_e32 vcc, 1, v15
	v_lshrrev_b32_e32 v5, 16, v5
	s_nop 0
	v_cndmask_b32_e32 v9, v17, v9, vcc
	v_and_b32_e32 v17, 7, v9
	v_cmp_lt_i32_e32 vcc, 5, v17
	v_cmp_eq_u32_e64 s[0:1], 3, v17
	v_lshrrev_b32_e32 v9, 2, v9
	s_or_b64 vcc, s[0:1], vcc
	v_addc_co_u32_e32 v9, vcc, 0, v9, vcc
	v_cmp_gt_i32_e32 vcc, 31, v15
	v_mad_u64_u32 v[2:3], s[0:1], s8, v7, v[2:3]
	s_nop 0
	v_cndmask_b32_e32 v9, v6, v9, vcc
	v_cmp_ne_u32_e32 vcc, 0, v4
	v_add_u32_e32 v3, s3, v3
	s_nop 0
	v_cndmask_b32_e64 v4, 0, 1, vcc
	v_lshl_or_b32 v4, v4, 9, v6
	v_cmp_eq_u32_e32 vcc, s15, v15
	s_nop 1
	v_cndmask_b32_e32 v4, v9, v4, vcc
	v_and_or_b32 v4, v5, s16, v4
	v_bitop3_b32 v5, v12, s2, v10 bitop3:0xc8
	v_lshrrev_b32_e32 v9, 16, v19
	v_lshl_or_b32 v4, v4, 16, v5
	s_waitcnt vmcnt(5)
	v_mul_f16_sdwa v5, v9, v14 dst_sel:DWORD dst_unused:UNUSED_PAD src0_sel:DWORD src1_sel:WORD_1
	v_fma_f16 v5, v19, v14, v5
	v_cvt_f32_f16_e32 v5, v5
	global_store_dword v[2:3], v4, off
	v_cvt_f64_f32_e32 v[4:5], v5
	v_mul_f64 v[4:5], v[4:5], s[6:7]
	v_and_or_b32 v4, v5, s10, v4
	v_cmp_ne_u32_e32 vcc, 0, v4
	v_lshrrev_b32_e32 v10, 8, v5
	v_bfe_u32 v12, v5, 20, 11
	v_cndmask_b32_e64 v4, 0, 1, vcc
	v_and_or_b32 v4, v10, s14, v4
	v_sub_u32_e32 v15, 0x3f1, v12
	v_or_b32_e32 v10, 0x1000, v4
	v_med3_i32 v15, v15, 0, 13
	v_lshrrev_b32_e32 v17, v15, v10
	v_lshlrev_b32_e32 v15, v15, v17
	v_cmp_ne_u32_e32 vcc, v15, v10
	v_add_u32_e32 v12, 0xfffffc10, v12
	v_lshl_or_b32 v15, v12, 12, v4
	v_cndmask_b32_e64 v10, 0, 1, vcc
	v_or_b32_e32 v10, v17, v10
	v_cmp_gt_i32_e32 vcc, 1, v12
	s_nop 1
	v_cndmask_b32_e32 v10, v15, v10, vcc
	v_and_b32_e32 v15, 7, v10
	v_cmp_lt_i32_e32 vcc, 5, v15
	v_cmp_eq_u32_e64 s[0:1], 3, v15
	v_lshrrev_b32_e32 v10, 2, v10
	s_or_b64 vcc, s[0:1], vcc
	v_mul_f16_sdwa v15, v19, v14 dst_sel:DWORD dst_unused:UNUSED_PAD src0_sel:DWORD src1_sel:WORD_1
	v_addc_co_u32_e32 v10, vcc, 0, v10, vcc
	v_fma_f16 v9, v14, v9, -v15
	v_cmp_gt_i32_e32 vcc, 31, v12
	v_cvt_f32_f16_e32 v9, v9
	s_nop 0
	v_cndmask_b32_e32 v10, v6, v10, vcc
	v_cmp_ne_u32_e32 vcc, 0, v4
	s_nop 1
	v_cndmask_b32_e64 v4, 0, 1, vcc
	v_lshl_or_b32 v4, v4, 9, v6
	v_cmp_eq_u32_e32 vcc, s15, v12
	v_and_b32_sdwa v12, v5, s16 dst_sel:DWORD dst_unused:UNUSED_PAD src0_sel:WORD_1 src1_sel:DWORD
	s_nop 0
	v_cndmask_b32_e32 v10, v10, v4, vcc
	v_cvt_f64_f32_e32 v[4:5], v9
	v_mul_f64 v[4:5], v[4:5], s[6:7]
	v_and_or_b32 v4, v5, s10, v4
	v_cmp_ne_u32_e32 vcc, 0, v4
	v_lshrrev_b32_e32 v9, 8, v5
	v_bfe_u32 v14, v5, 20, 11
	v_cndmask_b32_e64 v4, 0, 1, vcc
	v_and_or_b32 v4, v9, s14, v4
	v_sub_u32_e32 v15, 0x3f1, v14
	v_or_b32_e32 v9, 0x1000, v4
	v_med3_i32 v15, v15, 0, 13
	v_lshrrev_b32_e32 v17, v15, v9
	v_lshlrev_b32_e32 v15, v15, v17
	v_cmp_ne_u32_e32 vcc, v15, v9
	v_add_u32_e32 v14, 0xfffffc10, v14
	v_lshl_or_b32 v15, v14, 12, v4
	v_cndmask_b32_e64 v9, 0, 1, vcc
	v_or_b32_e32 v9, v17, v9
	v_cmp_gt_i32_e32 vcc, 1, v14
	v_add_u32_e32 v17, 0x400, v11
	v_lshrrev_b32_e32 v5, 16, v5
	v_cndmask_b32_e32 v9, v15, v9, vcc
	v_and_b32_e32 v15, 7, v9
	v_cmp_lt_i32_e32 vcc, 5, v15
	v_cmp_eq_u32_e64 s[0:1], 3, v15
	v_lshrrev_b32_e32 v9, 2, v9
	s_or_b64 vcc, s[0:1], vcc
	v_addc_co_u32_e32 v9, vcc, 0, v9, vcc
	v_cmp_gt_i32_e32 vcc, 31, v14
	v_mad_u64_u32 v[2:3], s[0:1], s8, v7, v[2:3]
	s_nop 0
	v_cndmask_b32_e32 v9, v6, v9, vcc
	v_cmp_ne_u32_e32 vcc, 0, v4
	v_add_u32_e32 v3, s3, v3
	s_nop 0
	v_cndmask_b32_e64 v4, 0, 1, vcc
	v_cmp_eq_u32_e32 vcc, s15, v14
	ds_read2_b32 v[14:15], v17 offset0:24 offset1:80
	v_lshl_or_b32 v4, v4, 9, v6
	v_cndmask_b32_e32 v4, v9, v4, vcc
	v_and_or_b32 v4, v5, s16, v4
	v_bitop3_b32 v5, v12, s2, v10 bitop3:0xc8
	s_waitcnt lgkmcnt(0)
	v_lshrrev_b32_e32 v9, 16, v14
	v_lshl_or_b32 v4, v4, 16, v5
	s_waitcnt vmcnt(5)
	v_mul_f16_sdwa v5, v9, v16 dst_sel:DWORD dst_unused:UNUSED_PAD src0_sel:DWORD src1_sel:WORD_1
	v_fma_f16 v5, v14, v16, v5
	v_cvt_f32_f16_e32 v5, v5
	global_store_dword v[2:3], v4, off
	v_mul_f16_sdwa v14, v14, v16 dst_sel:DWORD dst_unused:UNUSED_PAD src0_sel:DWORD src1_sel:WORD_1
	v_fma_f16 v9, v16, v9, -v14
	v_cvt_f64_f32_e32 v[4:5], v5
	v_mul_f64 v[4:5], v[4:5], s[6:7]
	v_and_or_b32 v4, v5, s10, v4
	v_cmp_ne_u32_e32 vcc, 0, v4
	v_lshrrev_b32_e32 v10, 8, v5
	v_bfe_u32 v12, v5, 20, 11
	v_cndmask_b32_e64 v4, 0, 1, vcc
	v_and_or_b32 v4, v10, s14, v4
	v_sub_u32_e32 v18, 0x3f1, v12
	v_or_b32_e32 v10, 0x1000, v4
	v_med3_i32 v18, v18, 0, 13
	v_lshrrev_b32_e32 v19, v18, v10
	v_lshlrev_b32_e32 v18, v18, v19
	v_cmp_ne_u32_e32 vcc, v18, v10
	v_add_u32_e32 v12, 0xfffffc10, v12
	v_lshl_or_b32 v18, v12, 12, v4
	v_cndmask_b32_e64 v10, 0, 1, vcc
	v_or_b32_e32 v10, v19, v10
	v_cmp_gt_i32_e32 vcc, 1, v12
	v_cvt_f32_f16_e32 v9, v9
	s_nop 0
	v_cndmask_b32_e32 v10, v18, v10, vcc
	v_and_b32_e32 v18, 7, v10
	v_cmp_lt_i32_e32 vcc, 5, v18
	v_cmp_eq_u32_e64 s[0:1], 3, v18
	v_lshrrev_b32_e32 v10, 2, v10
	s_or_b64 vcc, s[0:1], vcc
	v_addc_co_u32_e32 v10, vcc, 0, v10, vcc
	v_cmp_gt_i32_e32 vcc, 31, v12
	s_nop 1
	v_cndmask_b32_e32 v10, v6, v10, vcc
	v_cmp_ne_u32_e32 vcc, 0, v4
	s_nop 1
	v_cndmask_b32_e64 v4, 0, 1, vcc
	v_lshl_or_b32 v4, v4, 9, v6
	v_cmp_eq_u32_e32 vcc, s15, v12
	v_and_b32_sdwa v12, v5, s16 dst_sel:DWORD dst_unused:UNUSED_PAD src0_sel:WORD_1 src1_sel:DWORD
	s_nop 0
	v_cndmask_b32_e32 v10, v10, v4, vcc
	v_cvt_f64_f32_e32 v[4:5], v9
	v_mul_f64 v[4:5], v[4:5], s[6:7]
	v_and_or_b32 v4, v5, s10, v4
	v_cmp_ne_u32_e32 vcc, 0, v4
	v_lshrrev_b32_e32 v9, 8, v5
	v_bfe_u32 v14, v5, 20, 11
	v_cndmask_b32_e64 v4, 0, 1, vcc
	v_and_or_b32 v4, v9, s14, v4
	v_sub_u32_e32 v16, 0x3f1, v14
	v_or_b32_e32 v9, 0x1000, v4
	v_med3_i32 v16, v16, 0, 13
	v_lshrrev_b32_e32 v18, v16, v9
	v_lshlrev_b32_e32 v16, v16, v18
	v_cmp_ne_u32_e32 vcc, v16, v9
	v_add_u32_e32 v14, 0xfffffc10, v14
	v_lshl_or_b32 v16, v14, 12, v4
	v_cndmask_b32_e64 v9, 0, 1, vcc
	v_or_b32_e32 v9, v18, v9
	v_cmp_gt_i32_e32 vcc, 1, v14
	v_lshrrev_b32_e32 v5, 16, v5
	s_nop 0
	v_cndmask_b32_e32 v9, v16, v9, vcc
	v_and_b32_e32 v16, 7, v9
	v_cmp_lt_i32_e32 vcc, 5, v16
	v_cmp_eq_u32_e64 s[0:1], 3, v16
	v_lshrrev_b32_e32 v9, 2, v9
	s_or_b64 vcc, s[0:1], vcc
	v_addc_co_u32_e32 v9, vcc, 0, v9, vcc
	v_cmp_gt_i32_e32 vcc, 31, v14
	v_mad_u64_u32 v[2:3], s[0:1], s8, v7, v[2:3]
	s_nop 0
	v_cndmask_b32_e32 v9, v6, v9, vcc
	v_cmp_ne_u32_e32 vcc, 0, v4
	v_add_u32_e32 v3, s3, v3
	s_nop 0
	v_cndmask_b32_e64 v4, 0, 1, vcc
	v_lshl_or_b32 v4, v4, 9, v6
	v_cmp_eq_u32_e32 vcc, s15, v14
	s_nop 1
	v_cndmask_b32_e32 v4, v9, v4, vcc
	v_and_or_b32 v4, v5, s16, v4
	v_bitop3_b32 v5, v12, s2, v10 bitop3:0xc8
	global_load_dword v10, v11, s[12:13] offset:1568
	v_lshrrev_b32_e32 v9, 16, v15
	v_lshl_or_b32 v4, v4, 16, v5
	s_waitcnt vmcnt(6)
	v_mul_f16_sdwa v5, v9, v8 dst_sel:DWORD dst_unused:UNUSED_PAD src0_sel:DWORD src1_sel:WORD_1
	v_fma_f16 v5, v15, v8, v5
	v_cvt_f32_f16_e32 v5, v5
	global_store_dword v[2:3], v4, off
	v_mul_f16_sdwa v15, v15, v8 dst_sel:DWORD dst_unused:UNUSED_PAD src0_sel:DWORD src1_sel:WORD_1
	v_fma_f16 v8, v8, v9, -v15
	v_cvt_f64_f32_e32 v[4:5], v5
	v_mul_f64 v[4:5], v[4:5], s[6:7]
	v_and_or_b32 v4, v5, s10, v4
	v_cmp_ne_u32_e32 vcc, 0, v4
	v_lshrrev_b32_e32 v12, 8, v5
	v_bfe_u32 v14, v5, 20, 11
	v_cndmask_b32_e64 v4, 0, 1, vcc
	v_and_or_b32 v4, v12, s14, v4
	v_sub_u32_e32 v16, 0x3f1, v14
	v_or_b32_e32 v12, 0x1000, v4
	v_med3_i32 v16, v16, 0, 13
	v_lshrrev_b32_e32 v18, v16, v12
	v_lshlrev_b32_e32 v16, v16, v18
	v_cmp_ne_u32_e32 vcc, v16, v12
	v_add_u32_e32 v14, 0xfffffc10, v14
	v_lshl_or_b32 v16, v14, 12, v4
	v_cndmask_b32_e64 v12, 0, 1, vcc
	v_or_b32_e32 v12, v18, v12
	v_cmp_gt_i32_e32 vcc, 1, v14
	v_cvt_f32_f16_e32 v8, v8
	s_nop 0
	v_cndmask_b32_e32 v12, v16, v12, vcc
	v_and_b32_e32 v16, 7, v12
	v_cmp_lt_i32_e32 vcc, 5, v16
	v_cmp_eq_u32_e64 s[0:1], 3, v16
	v_lshrrev_b32_e32 v12, 2, v12
	s_or_b64 vcc, s[0:1], vcc
	v_addc_co_u32_e32 v12, vcc, 0, v12, vcc
	v_cmp_gt_i32_e32 vcc, 31, v14
	s_nop 1
	v_cndmask_b32_e32 v12, v6, v12, vcc
	v_cmp_ne_u32_e32 vcc, 0, v4
	s_nop 1
	v_cndmask_b32_e64 v4, 0, 1, vcc
	v_lshl_or_b32 v4, v4, 9, v6
	v_cmp_eq_u32_e32 vcc, s15, v14
	v_and_b32_sdwa v14, v5, s16 dst_sel:DWORD dst_unused:UNUSED_PAD src0_sel:WORD_1 src1_sel:DWORD
	s_nop 0
	v_cndmask_b32_e32 v12, v12, v4, vcc
	v_cvt_f64_f32_e32 v[4:5], v8
	v_mul_f64 v[8:9], v[4:5], s[6:7]
	v_and_or_b32 v4, v9, s10, v8
	v_cmp_ne_u32_e32 vcc, 0, v4
	v_lshrrev_b32_e32 v5, 8, v9
	v_bfe_u32 v8, v9, 20, 11
	v_cndmask_b32_e64 v4, 0, 1, vcc
	v_and_or_b32 v4, v5, s14, v4
	v_sub_u32_e32 v15, 0x3f1, v8
	v_or_b32_e32 v5, 0x1000, v4
	v_med3_i32 v15, v15, 0, 13
	v_lshrrev_b32_e32 v16, v15, v5
	v_lshlrev_b32_e32 v15, v15, v16
	v_cmp_ne_u32_e32 vcc, v15, v5
	v_add_u32_e32 v8, 0xfffffc10, v8
	v_lshl_or_b32 v15, v8, 12, v4
	v_cndmask_b32_e64 v5, 0, 1, vcc
	v_or_b32_e32 v5, v16, v5
	v_cmp_gt_i32_e32 vcc, 1, v8
	v_lshrrev_b32_e32 v9, 16, v9
	s_nop 0
	v_cndmask_b32_e32 v5, v15, v5, vcc
	v_and_b32_e32 v15, 7, v5
	v_cmp_lt_i32_e32 vcc, 5, v15
	v_cmp_eq_u32_e64 s[0:1], 3, v15
	v_lshrrev_b32_e32 v5, 2, v5
	s_or_b64 vcc, s[0:1], vcc
	v_addc_co_u32_e32 v5, vcc, 0, v5, vcc
	v_cmp_gt_i32_e32 vcc, 31, v8
	v_mad_u64_u32 v[2:3], s[0:1], s8, v7, v[2:3]
	s_nop 0
	v_cndmask_b32_e32 v5, v6, v5, vcc
	v_cmp_ne_u32_e32 vcc, 0, v4
	v_add_u32_e32 v3, s3, v3
	s_nop 0
	v_cndmask_b32_e64 v4, 0, 1, vcc
	v_lshl_or_b32 v4, v4, 9, v6
	v_cmp_eq_u32_e32 vcc, s15, v8
	s_nop 1
	v_cndmask_b32_e32 v8, v5, v4, vcc
	ds_read2_b32 v[4:5], v17 offset0:136 offset1:192
	v_and_or_b32 v8, v9, s16, v8
	v_bitop3_b32 v9, v14, s2, v12 bitop3:0xc8
	global_load_dword v14, v11, s[12:13] offset:1792
	global_load_dword v15, v11, s[12:13] offset:2016
	;; [unrolled: 1-line block ×3, first 2 shown]
	v_lshl_or_b32 v8, v8, 16, v9
	s_waitcnt lgkmcnt(0)
	v_lshrrev_b32_e32 v12, 16, v4
	s_waitcnt vmcnt(4)
	v_mul_f16_sdwa v9, v12, v10 dst_sel:DWORD dst_unused:UNUSED_PAD src0_sel:DWORD src1_sel:WORD_1
	v_fma_f16 v9, v4, v10, v9
	v_cvt_f32_f16_e32 v9, v9
	global_store_dword v[2:3], v8, off
	v_mul_f16_sdwa v4, v4, v10 dst_sel:DWORD dst_unused:UNUSED_PAD src0_sel:DWORD src1_sel:WORD_1
	v_fma_f16 v4, v10, v12, -v4
	v_cvt_f64_f32_e32 v[8:9], v9
	v_mul_f64 v[8:9], v[8:9], s[6:7]
	v_and_or_b32 v8, v9, s10, v8
	v_cmp_ne_u32_e32 vcc, 0, v8
	v_lshrrev_b32_e32 v17, 8, v9
	v_bfe_u32 v18, v9, 20, 11
	v_cndmask_b32_e64 v8, 0, 1, vcc
	v_and_or_b32 v8, v17, s14, v8
	v_sub_u32_e32 v19, 0x3f1, v18
	v_or_b32_e32 v17, 0x1000, v8
	v_med3_i32 v19, v19, 0, 13
	v_lshrrev_b32_e32 v20, v19, v17
	v_lshlrev_b32_e32 v19, v19, v20
	v_cmp_ne_u32_e32 vcc, v19, v17
	v_add_u32_e32 v18, 0xfffffc10, v18
	v_lshl_or_b32 v19, v18, 12, v8
	v_cndmask_b32_e64 v17, 0, 1, vcc
	v_or_b32_e32 v17, v20, v17
	v_cmp_gt_i32_e32 vcc, 1, v18
	v_cvt_f32_f16_e32 v4, v4
	v_and_b32_sdwa v12, v9, s16 dst_sel:DWORD dst_unused:UNUSED_PAD src0_sel:WORD_1 src1_sel:DWORD
	v_cndmask_b32_e32 v17, v19, v17, vcc
	v_and_b32_e32 v19, 7, v17
	v_cmp_lt_i32_e32 vcc, 5, v19
	v_cmp_eq_u32_e64 s[0:1], 3, v19
	v_lshrrev_b32_e32 v17, 2, v17
	s_or_b64 vcc, s[0:1], vcc
	v_addc_co_u32_e32 v17, vcc, 0, v17, vcc
	v_cmp_gt_i32_e32 vcc, 31, v18
	s_nop 1
	v_cndmask_b32_e32 v17, v6, v17, vcc
	v_cmp_ne_u32_e32 vcc, 0, v8
	s_nop 1
	v_cndmask_b32_e64 v8, 0, 1, vcc
	v_lshl_or_b32 v8, v8, 9, v6
	v_cmp_eq_u32_e32 vcc, s15, v18
	s_nop 1
	v_cndmask_b32_e32 v10, v17, v8, vcc
	v_cvt_f64_f32_e32 v[8:9], v4
	v_mul_f64 v[8:9], v[8:9], s[6:7]
	v_and_or_b32 v4, v9, s10, v8
	v_cmp_ne_u32_e32 vcc, 0, v4
	v_lshrrev_b32_e32 v8, 8, v9
	v_bfe_u32 v17, v9, 20, 11
	v_cndmask_b32_e64 v4, 0, 1, vcc
	v_and_or_b32 v4, v8, s14, v4
	v_sub_u32_e32 v18, 0x3f1, v17
	v_or_b32_e32 v8, 0x1000, v4
	v_med3_i32 v18, v18, 0, 13
	v_lshrrev_b32_e32 v19, v18, v8
	v_lshlrev_b32_e32 v18, v18, v19
	v_cmp_ne_u32_e32 vcc, v18, v8
	v_add_u32_e32 v17, 0xfffffc10, v17
	v_lshl_or_b32 v18, v17, 12, v4
	v_cndmask_b32_e64 v8, 0, 1, vcc
	v_or_b32_e32 v8, v19, v8
	v_cmp_gt_i32_e32 vcc, 1, v17
	s_nop 1
	v_cndmask_b32_e32 v8, v18, v8, vcc
	v_and_b32_e32 v18, 7, v8
	v_cmp_lt_i32_e32 vcc, 5, v18
	v_cmp_eq_u32_e64 s[0:1], 3, v18
	v_lshrrev_b32_e32 v8, 2, v8
	s_or_b64 vcc, s[0:1], vcc
	v_addc_co_u32_e32 v8, vcc, 0, v8, vcc
	v_cmp_gt_i32_e32 vcc, 31, v17
	v_mad_u64_u32 v[2:3], s[0:1], s8, v7, v[2:3]
	s_nop 0
	v_cndmask_b32_e32 v8, v6, v8, vcc
	v_cmp_ne_u32_e32 vcc, 0, v4
	v_add_u32_e32 v3, s3, v3
	s_nop 0
	v_cndmask_b32_e64 v4, 0, 1, vcc
	v_lshl_or_b32 v4, v4, 9, v6
	v_cmp_eq_u32_e32 vcc, s15, v17
	s_nop 1
	v_cndmask_b32_e32 v4, v8, v4, vcc
	v_lshrrev_b32_e32 v8, 16, v9
	v_and_or_b32 v4, v8, s16, v4
	v_bitop3_b32 v8, v12, s2, v10 bitop3:0xc8
	v_lshrrev_b32_e32 v10, 16, v5
	v_lshl_or_b32 v4, v4, 16, v8
	s_waitcnt vmcnt(3)
	v_mul_f16_sdwa v8, v10, v14 dst_sel:DWORD dst_unused:UNUSED_PAD src0_sel:DWORD src1_sel:WORD_1
	v_fma_f16 v8, v5, v14, v8
	v_cvt_f32_f16_e32 v8, v8
	global_store_dword v[2:3], v4, off
	v_or_b32_e32 v12, 0x1c0, v13
	v_mul_f16_sdwa v5, v5, v14 dst_sel:DWORD dst_unused:UNUSED_PAD src0_sel:DWORD src1_sel:WORD_1
	v_cvt_f64_f32_e32 v[8:9], v8
	v_mul_f64 v[8:9], v[8:9], s[6:7]
	v_and_or_b32 v4, v9, s10, v8
	v_cmp_ne_u32_e32 vcc, 0, v4
	v_lshrrev_b32_e32 v8, 8, v9
	v_bfe_u32 v13, v9, 20, 11
	v_cndmask_b32_e64 v4, 0, 1, vcc
	v_and_or_b32 v4, v8, s14, v4
	v_sub_u32_e32 v17, 0x3f1, v13
	v_or_b32_e32 v8, 0x1000, v4
	v_med3_i32 v17, v17, 0, 13
	v_lshrrev_b32_e32 v18, v17, v8
	v_lshlrev_b32_e32 v17, v17, v18
	v_cmp_ne_u32_e32 vcc, v17, v8
	v_add_u32_e32 v13, 0xfffffc10, v13
	v_lshl_or_b32 v17, v13, 12, v4
	v_cndmask_b32_e64 v8, 0, 1, vcc
	v_or_b32_e32 v8, v18, v8
	v_cmp_gt_i32_e32 vcc, 1, v13
	v_fma_f16 v5, v14, v10, -v5
	v_cvt_f32_f16_e32 v5, v5
	v_cndmask_b32_e32 v8, v17, v8, vcc
	v_and_b32_e32 v17, 7, v8
	v_cmp_lt_i32_e32 vcc, 5, v17
	v_cmp_eq_u32_e64 s[0:1], 3, v17
	v_lshrrev_b32_e32 v8, 2, v8
	s_or_b64 vcc, s[0:1], vcc
	v_addc_co_u32_e32 v8, vcc, 0, v8, vcc
	v_cmp_gt_i32_e32 vcc, 31, v13
	v_and_b32_sdwa v14, v9, s16 dst_sel:DWORD dst_unused:UNUSED_PAD src0_sel:WORD_1 src1_sel:DWORD
	s_nop 0
	v_cndmask_b32_e32 v8, v6, v8, vcc
	v_cmp_ne_u32_e32 vcc, 0, v4
	s_nop 1
	v_cndmask_b32_e64 v4, 0, 1, vcc
	v_lshl_or_b32 v4, v4, 9, v6
	v_cmp_eq_u32_e32 vcc, s15, v13
	s_nop 1
	v_cndmask_b32_e32 v13, v8, v4, vcc
	v_cvt_f64_f32_e32 v[4:5], v5
	v_mul_f64 v[4:5], v[4:5], s[6:7]
	v_and_or_b32 v4, v5, s10, v4
	v_cmp_ne_u32_e32 vcc, 0, v4
	v_lshrrev_b32_e32 v8, 8, v5
	v_bfe_u32 v9, v5, 20, 11
	v_cndmask_b32_e64 v4, 0, 1, vcc
	v_and_or_b32 v4, v8, s14, v4
	v_sub_u32_e32 v10, 0x3f1, v9
	v_or_b32_e32 v8, 0x1000, v4
	v_med3_i32 v10, v10, 0, 13
	v_lshrrev_b32_e32 v17, v10, v8
	v_lshlrev_b32_e32 v10, v10, v17
	v_cmp_ne_u32_e32 vcc, v10, v8
	v_add_u32_e32 v9, 0xfffffc10, v9
	v_lshl_or_b32 v10, v9, 12, v4
	v_cndmask_b32_e64 v8, 0, 1, vcc
	v_or_b32_e32 v8, v17, v8
	v_cmp_gt_i32_e32 vcc, 1, v9
	v_lshrrev_b32_e32 v5, 16, v5
	s_nop 0
	v_cndmask_b32_e32 v8, v10, v8, vcc
	v_and_b32_e32 v10, 7, v8
	v_cmp_lt_i32_e32 vcc, 5, v10
	v_cmp_eq_u32_e64 s[0:1], 3, v10
	v_lshrrev_b32_e32 v8, 2, v8
	s_or_b64 vcc, s[0:1], vcc
	v_addc_co_u32_e32 v8, vcc, 0, v8, vcc
	v_cmp_gt_i32_e32 vcc, 31, v9
	s_nop 1
	v_cndmask_b32_e32 v8, v6, v8, vcc
	v_cmp_ne_u32_e32 vcc, 0, v4
	s_nop 1
	v_cndmask_b32_e64 v4, 0, 1, vcc
	v_lshl_or_b32 v4, v4, 9, v6
	v_cmp_eq_u32_e32 vcc, s15, v9
	s_nop 1
	v_cndmask_b32_e32 v4, v8, v4, vcc
	v_and_or_b32 v17, v5, s16, v4
	v_mad_u64_u32 v[4:5], s[0:1], s8, v12, 0
	v_mov_b32_e32 v8, v5
	v_add_u32_e32 v5, 0x600, v11
	ds_read2_b32 v[10:11], v5 offset0:120 offset1:176
	v_mad_u64_u32 v[8:9], s[0:1], s9, v12, v[8:9]
	v_mov_b32_e32 v5, v8
	v_bitop3_b32 v8, v14, s2, v13 bitop3:0xc8
	s_waitcnt lgkmcnt(0)
	v_lshrrev_b32_e32 v9, 16, v10
	s_waitcnt vmcnt(3)
	v_mul_f16_sdwa v12, v9, v15 dst_sel:DWORD dst_unused:UNUSED_PAD src0_sel:DWORD src1_sel:WORD_1
	v_fma_f16 v12, v10, v15, v12
	v_cvt_f32_f16_e32 v12, v12
	v_lshl_or_b32 v8, v17, 16, v8
	v_lshl_add_u64 v[0:1], v[4:5], 2, v[0:1]
	global_store_dword v[0:1], v8, off
	v_cvt_f64_f32_e32 v[0:1], v12
	v_mul_f64 v[0:1], v[0:1], s[6:7]
	v_and_or_b32 v0, v1, s10, v0
	v_cmp_ne_u32_e32 vcc, 0, v0
	v_lshrrev_b32_e32 v4, 8, v1
	v_bfe_u32 v5, v1, 20, 11
	v_cndmask_b32_e64 v0, 0, 1, vcc
	v_and_or_b32 v0, v4, s14, v0
	v_sub_u32_e32 v8, 0x3f1, v5
	v_or_b32_e32 v4, 0x1000, v0
	v_med3_i32 v8, v8, 0, 13
	v_lshrrev_b32_e32 v12, v8, v4
	v_lshlrev_b32_e32 v8, v8, v12
	v_cmp_ne_u32_e32 vcc, v8, v4
	v_add_u32_e32 v5, 0xfffffc10, v5
	v_lshl_or_b32 v8, v5, 12, v0
	v_cndmask_b32_e64 v4, 0, 1, vcc
	v_or_b32_e32 v4, v12, v4
	v_cmp_gt_i32_e32 vcc, 1, v5
	s_nop 1
	v_cndmask_b32_e32 v4, v8, v4, vcc
	v_and_b32_e32 v8, 7, v4
	v_cmp_lt_i32_e32 vcc, 5, v8
	v_cmp_eq_u32_e64 s[0:1], 3, v8
	v_lshrrev_b32_e32 v4, 2, v4
	s_or_b64 vcc, s[0:1], vcc
	v_mul_f16_sdwa v8, v10, v15 dst_sel:DWORD dst_unused:UNUSED_PAD src0_sel:DWORD src1_sel:WORD_1
	v_addc_co_u32_e32 v4, vcc, 0, v4, vcc
	v_fma_f16 v8, v15, v9, -v8
	v_cmp_gt_i32_e32 vcc, 31, v5
	v_cvt_f32_f16_e32 v8, v8
	s_nop 0
	v_cndmask_b32_e32 v4, v6, v4, vcc
	v_cmp_ne_u32_e32 vcc, 0, v0
	s_nop 1
	v_cndmask_b32_e64 v0, 0, 1, vcc
	v_lshl_or_b32 v0, v0, 9, v6
	v_cmp_eq_u32_e32 vcc, s15, v5
	v_and_b32_sdwa v5, v1, s16 dst_sel:DWORD dst_unused:UNUSED_PAD src0_sel:WORD_1 src1_sel:DWORD
	s_nop 0
	v_cndmask_b32_e32 v4, v4, v0, vcc
	v_cvt_f64_f32_e32 v[0:1], v8
	v_mul_f64 v[0:1], v[0:1], s[6:7]
	v_and_or_b32 v0, v1, s10, v0
	v_cmp_ne_u32_e32 vcc, 0, v0
	v_lshrrev_b32_e32 v8, 8, v1
	v_bfe_u32 v9, v1, 20, 11
	v_cndmask_b32_e64 v0, 0, 1, vcc
	v_and_or_b32 v0, v8, s14, v0
	v_sub_u32_e32 v10, 0x3f1, v9
	v_or_b32_e32 v8, 0x1000, v0
	v_med3_i32 v10, v10, 0, 13
	v_lshrrev_b32_e32 v12, v10, v8
	v_lshlrev_b32_e32 v10, v10, v12
	v_cmp_ne_u32_e32 vcc, v10, v8
	v_add_u32_e32 v9, 0xfffffc10, v9
	v_lshl_or_b32 v10, v9, 12, v0
	v_cndmask_b32_e64 v8, 0, 1, vcc
	v_or_b32_e32 v8, v12, v8
	v_cmp_gt_i32_e32 vcc, 1, v9
	v_lshrrev_b32_e32 v1, 16, v1
	s_nop 0
	v_cndmask_b32_e32 v8, v10, v8, vcc
	v_and_b32_e32 v10, 7, v8
	v_cmp_lt_i32_e32 vcc, 5, v10
	v_cmp_eq_u32_e64 s[0:1], 3, v10
	v_lshrrev_b32_e32 v8, 2, v8
	s_or_b64 vcc, s[0:1], vcc
	v_addc_co_u32_e32 v8, vcc, 0, v8, vcc
	v_cmp_gt_i32_e32 vcc, 31, v9
	s_nop 1
	v_cndmask_b32_e32 v8, v6, v8, vcc
	v_cmp_ne_u32_e32 vcc, 0, v0
	s_nop 1
	v_cndmask_b32_e64 v0, 0, 1, vcc
	v_lshl_or_b32 v0, v0, 9, v6
	v_cmp_eq_u32_e32 vcc, s15, v9
	s_nop 1
	v_cndmask_b32_e32 v0, v8, v0, vcc
	v_and_or_b32 v0, v1, s16, v0
	v_bitop3_b32 v1, v5, s2, v4 bitop3:0xc8
	v_lshl_or_b32 v4, v0, 16, v1
	v_mov_b32_e32 v0, 0x1c0
	v_lshrrev_b32_e32 v5, 16, v11
	v_mad_u64_u32 v[0:1], s[0:1], s8, v0, v[2:3]
	s_waitcnt vmcnt(3)
	v_mul_f16_sdwa v2, v5, v16 dst_sel:DWORD dst_unused:UNUSED_PAD src0_sel:DWORD src1_sel:WORD_1
	v_fma_f16 v2, v11, v16, v2
	v_cvt_f32_f16_e32 v2, v2
	s_mul_i32 s0, s9, 0x1c0
	v_add_u32_e32 v1, s0, v1
	global_store_dword v[0:1], v4, off
	v_cvt_f64_f32_e32 v[2:3], v2
	v_mul_f64 v[2:3], v[2:3], s[6:7]
	v_and_or_b32 v2, v3, s10, v2
	v_cmp_ne_u32_e32 vcc, 0, v2
	v_lshrrev_b32_e32 v4, 8, v3
	v_bfe_u32 v8, v3, 20, 11
	v_cndmask_b32_e64 v2, 0, 1, vcc
	v_and_or_b32 v2, v4, s14, v2
	v_sub_u32_e32 v9, 0x3f1, v8
	v_or_b32_e32 v4, 0x1000, v2
	v_med3_i32 v9, v9, 0, 13
	v_lshrrev_b32_e32 v10, v9, v4
	v_lshlrev_b32_e32 v9, v9, v10
	v_cmp_ne_u32_e32 vcc, v9, v4
	v_add_u32_e32 v8, 0xfffffc10, v8
	v_lshl_or_b32 v9, v8, 12, v2
	v_cndmask_b32_e64 v4, 0, 1, vcc
	v_or_b32_e32 v4, v10, v4
	v_cmp_gt_i32_e32 vcc, 1, v8
	s_nop 1
	v_cndmask_b32_e32 v4, v9, v4, vcc
	v_and_b32_e32 v9, 7, v4
	v_cmp_lt_i32_e32 vcc, 5, v9
	v_cmp_eq_u32_e64 s[0:1], 3, v9
	v_lshrrev_b32_e32 v4, 2, v4
	s_or_b64 vcc, s[0:1], vcc
	v_mul_f16_sdwa v9, v11, v16 dst_sel:DWORD dst_unused:UNUSED_PAD src0_sel:DWORD src1_sel:WORD_1
	v_addc_co_u32_e32 v4, vcc, 0, v4, vcc
	v_fma_f16 v5, v16, v5, -v9
	v_cmp_gt_i32_e32 vcc, 31, v8
	v_cvt_f32_f16_e32 v5, v5
	s_nop 0
	v_cndmask_b32_e32 v4, v6, v4, vcc
	v_cmp_ne_u32_e32 vcc, 0, v2
	s_nop 1
	v_cndmask_b32_e64 v2, 0, 1, vcc
	v_lshl_or_b32 v2, v2, 9, v6
	v_cmp_eq_u32_e32 vcc, s15, v8
	v_and_b32_sdwa v8, v3, s16 dst_sel:DWORD dst_unused:UNUSED_PAD src0_sel:WORD_1 src1_sel:DWORD
	s_nop 0
	v_cndmask_b32_e32 v4, v4, v2, vcc
	v_cvt_f64_f32_e32 v[2:3], v5
	v_mul_f64 v[2:3], v[2:3], s[6:7]
	v_and_or_b32 v2, v3, s10, v2
	v_cmp_ne_u32_e32 vcc, 0, v2
	v_lshrrev_b32_e32 v5, 8, v3
	v_bfe_u32 v9, v3, 20, 11
	v_cndmask_b32_e64 v2, 0, 1, vcc
	v_and_or_b32 v2, v5, s14, v2
	v_sub_u32_e32 v10, 0x3f1, v9
	v_or_b32_e32 v5, 0x1000, v2
	v_med3_i32 v10, v10, 0, 13
	v_lshrrev_b32_e32 v11, v10, v5
	v_lshlrev_b32_e32 v10, v10, v11
	v_cmp_ne_u32_e32 vcc, v10, v5
	v_add_u32_e32 v9, 0xfffffc10, v9
	v_lshl_or_b32 v10, v9, 12, v2
	v_cndmask_b32_e64 v5, 0, 1, vcc
	v_or_b32_e32 v5, v11, v5
	v_cmp_gt_i32_e32 vcc, 1, v9
	v_lshrrev_b32_e32 v3, 16, v3
	s_nop 0
	v_cndmask_b32_e32 v5, v10, v5, vcc
	v_and_b32_e32 v10, 7, v5
	v_cmp_lt_i32_e32 vcc, 5, v10
	v_cmp_eq_u32_e64 s[0:1], 3, v10
	v_lshrrev_b32_e32 v5, 2, v5
	s_or_b64 vcc, s[0:1], vcc
	v_addc_co_u32_e32 v5, vcc, 0, v5, vcc
	v_cmp_gt_i32_e32 vcc, 31, v9
	v_mad_u64_u32 v[0:1], s[0:1], s8, v7, v[0:1]
	s_nop 0
	v_cndmask_b32_e32 v5, v6, v5, vcc
	v_cmp_ne_u32_e32 vcc, 0, v2
	v_add_u32_e32 v1, s3, v1
	s_nop 0
	v_cndmask_b32_e64 v2, 0, 1, vcc
	v_lshl_or_b32 v2, v2, 9, v6
	v_cmp_eq_u32_e32 vcc, s15, v9
	s_nop 1
	v_cndmask_b32_e32 v2, v5, v2, vcc
	v_and_or_b32 v2, v3, s16, v2
	v_bitop3_b32 v3, v8, s2, v4 bitop3:0xc8
	v_lshl_or_b32 v2, v2, 16, v3
	global_store_dword v[0:1], v2, off
.LBB0_23:
	s_endpgm
	.section	.rodata,"a",@progbits
	.p2align	6, 0x0
	.amdhsa_kernel bluestein_single_fwd_len616_dim1_half_op_CI_CI
		.amdhsa_group_segment_fixed_size 2464
		.amdhsa_private_segment_fixed_size 0
		.amdhsa_kernarg_size 104
		.amdhsa_user_sgpr_count 2
		.amdhsa_user_sgpr_dispatch_ptr 0
		.amdhsa_user_sgpr_queue_ptr 0
		.amdhsa_user_sgpr_kernarg_segment_ptr 1
		.amdhsa_user_sgpr_dispatch_id 0
		.amdhsa_user_sgpr_kernarg_preload_length 0
		.amdhsa_user_sgpr_kernarg_preload_offset 0
		.amdhsa_user_sgpr_private_segment_size 0
		.amdhsa_uses_dynamic_stack 0
		.amdhsa_enable_private_segment 0
		.amdhsa_system_sgpr_workgroup_id_x 1
		.amdhsa_system_sgpr_workgroup_id_y 0
		.amdhsa_system_sgpr_workgroup_id_z 0
		.amdhsa_system_sgpr_workgroup_info 0
		.amdhsa_system_vgpr_workitem_id 0
		.amdhsa_next_free_vgpr 101
		.amdhsa_next_free_sgpr 27
		.amdhsa_accum_offset 104
		.amdhsa_reserve_vcc 1
		.amdhsa_float_round_mode_32 0
		.amdhsa_float_round_mode_16_64 0
		.amdhsa_float_denorm_mode_32 3
		.amdhsa_float_denorm_mode_16_64 3
		.amdhsa_dx10_clamp 1
		.amdhsa_ieee_mode 1
		.amdhsa_fp16_overflow 0
		.amdhsa_tg_split 0
		.amdhsa_exception_fp_ieee_invalid_op 0
		.amdhsa_exception_fp_denorm_src 0
		.amdhsa_exception_fp_ieee_div_zero 0
		.amdhsa_exception_fp_ieee_overflow 0
		.amdhsa_exception_fp_ieee_underflow 0
		.amdhsa_exception_fp_ieee_inexact 0
		.amdhsa_exception_int_div_zero 0
	.end_amdhsa_kernel
	.text
.Lfunc_end0:
	.size	bluestein_single_fwd_len616_dim1_half_op_CI_CI, .Lfunc_end0-bluestein_single_fwd_len616_dim1_half_op_CI_CI
                                        ; -- End function
	.section	.AMDGPU.csdata,"",@progbits
; Kernel info:
; codeLenInByte = 16036
; NumSgprs: 33
; NumVgprs: 101
; NumAgprs: 0
; TotalNumVgprs: 101
; ScratchSize: 0
; MemoryBound: 0
; FloatMode: 240
; IeeeMode: 1
; LDSByteSize: 2464 bytes/workgroup (compile time only)
; SGPRBlocks: 4
; VGPRBlocks: 12
; NumSGPRsForWavesPerEU: 33
; NumVGPRsForWavesPerEU: 101
; AccumOffset: 104
; Occupancy: 4
; WaveLimiterHint : 1
; COMPUTE_PGM_RSRC2:SCRATCH_EN: 0
; COMPUTE_PGM_RSRC2:USER_SGPR: 2
; COMPUTE_PGM_RSRC2:TRAP_HANDLER: 0
; COMPUTE_PGM_RSRC2:TGID_X_EN: 1
; COMPUTE_PGM_RSRC2:TGID_Y_EN: 0
; COMPUTE_PGM_RSRC2:TGID_Z_EN: 0
; COMPUTE_PGM_RSRC2:TIDIG_COMP_CNT: 0
; COMPUTE_PGM_RSRC3_GFX90A:ACCUM_OFFSET: 25
; COMPUTE_PGM_RSRC3_GFX90A:TG_SPLIT: 0
	.text
	.p2alignl 6, 3212836864
	.fill 256, 4, 3212836864
	.type	__hip_cuid_90b295b192a679d4,@object ; @__hip_cuid_90b295b192a679d4
	.section	.bss,"aw",@nobits
	.globl	__hip_cuid_90b295b192a679d4
__hip_cuid_90b295b192a679d4:
	.byte	0                               ; 0x0
	.size	__hip_cuid_90b295b192a679d4, 1

	.ident	"AMD clang version 19.0.0git (https://github.com/RadeonOpenCompute/llvm-project roc-6.4.0 25133 c7fe45cf4b819c5991fe208aaa96edf142730f1d)"
	.section	".note.GNU-stack","",@progbits
	.addrsig
	.addrsig_sym __hip_cuid_90b295b192a679d4
	.amdgpu_metadata
---
amdhsa.kernels:
  - .agpr_count:     0
    .args:
      - .actual_access:  read_only
        .address_space:  global
        .offset:         0
        .size:           8
        .value_kind:     global_buffer
      - .actual_access:  read_only
        .address_space:  global
        .offset:         8
        .size:           8
        .value_kind:     global_buffer
      - .actual_access:  read_only
        .address_space:  global
        .offset:         16
        .size:           8
        .value_kind:     global_buffer
      - .actual_access:  read_only
        .address_space:  global
        .offset:         24
        .size:           8
        .value_kind:     global_buffer
      - .actual_access:  read_only
        .address_space:  global
        .offset:         32
        .size:           8
        .value_kind:     global_buffer
      - .offset:         40
        .size:           8
        .value_kind:     by_value
      - .address_space:  global
        .offset:         48
        .size:           8
        .value_kind:     global_buffer
      - .address_space:  global
        .offset:         56
        .size:           8
        .value_kind:     global_buffer
      - .address_space:  global
        .offset:         64
        .size:           8
        .value_kind:     global_buffer
      - .address_space:  global
        .offset:         72
        .size:           8
        .value_kind:     global_buffer
      - .offset:         80
        .size:           4
        .value_kind:     by_value
      - .address_space:  global
        .offset:         88
        .size:           8
        .value_kind:     global_buffer
      - .address_space:  global
        .offset:         96
        .size:           8
        .value_kind:     global_buffer
    .group_segment_fixed_size: 2464
    .kernarg_segment_align: 8
    .kernarg_segment_size: 104
    .language:       OpenCL C
    .language_version:
      - 2
      - 0
    .max_flat_workgroup_size: 88
    .name:           bluestein_single_fwd_len616_dim1_half_op_CI_CI
    .private_segment_fixed_size: 0
    .sgpr_count:     33
    .sgpr_spill_count: 0
    .symbol:         bluestein_single_fwd_len616_dim1_half_op_CI_CI.kd
    .uniform_work_group_size: 1
    .uses_dynamic_stack: false
    .vgpr_count:     101
    .vgpr_spill_count: 0
    .wavefront_size: 64
amdhsa.target:   amdgcn-amd-amdhsa--gfx950
amdhsa.version:
  - 1
  - 2
...

	.end_amdgpu_metadata
